;; amdgpu-corpus repo=ROCm/rocFFT kind=compiled arch=gfx906 opt=O3
	.text
	.amdgcn_target "amdgcn-amd-amdhsa--gfx906"
	.amdhsa_code_object_version 6
	.protected	fft_rtc_back_len936_factors_2_2_13_2_3_3_wgs_234_tpt_78_halfLds_dp_op_CI_CI_sbrr_dirReg ; -- Begin function fft_rtc_back_len936_factors_2_2_13_2_3_3_wgs_234_tpt_78_halfLds_dp_op_CI_CI_sbrr_dirReg
	.globl	fft_rtc_back_len936_factors_2_2_13_2_3_3_wgs_234_tpt_78_halfLds_dp_op_CI_CI_sbrr_dirReg
	.p2align	8
	.type	fft_rtc_back_len936_factors_2_2_13_2_3_3_wgs_234_tpt_78_halfLds_dp_op_CI_CI_sbrr_dirReg,@function
fft_rtc_back_len936_factors_2_2_13_2_3_3_wgs_234_tpt_78_halfLds_dp_op_CI_CI_sbrr_dirReg: ; @fft_rtc_back_len936_factors_2_2_13_2_3_3_wgs_234_tpt_78_halfLds_dp_op_CI_CI_sbrr_dirReg
; %bb.0:
	s_load_dwordx4 s[16:19], s[4:5], 0x18
	s_load_dwordx4 s[12:15], s[4:5], 0x0
	;; [unrolled: 1-line block ×3, first 2 shown]
	v_mul_u32_u24_e32 v1, 0x349, v0
	v_lshrrev_b32_e32 v1, 16, v1
	s_waitcnt lgkmcnt(0)
	s_load_dwordx2 s[20:21], s[16:17], 0x0
	s_load_dwordx2 s[2:3], s[18:19], 0x0
	v_mad_u64_u32 v[48:49], s[0:1], s6, 3, v[1:2]
	v_mov_b32_e32 v1, 0
	v_mov_b32_e32 v4, 0
	;; [unrolled: 1-line block ×3, first 2 shown]
	v_cmp_lt_u64_e64 s[0:1], s[14:15], 2
	v_mov_b32_e32 v5, 0
	v_mov_b32_e32 v53, v5
	;; [unrolled: 1-line block ×3, first 2 shown]
	s_and_b64 vcc, exec, s[0:1]
	v_mov_b32_e32 v52, v4
	v_mov_b32_e32 v54, v48
	s_cbranch_vccnz .LBB0_8
; %bb.1:
	s_load_dwordx2 s[0:1], s[4:5], 0x10
	s_add_u32 s6, s18, 8
	s_addc_u32 s7, s19, 0
	s_add_u32 s22, s16, 8
	v_mov_b32_e32 v4, 0
	s_addc_u32 s23, s17, 0
	v_mov_b32_e32 v5, 0
	s_waitcnt lgkmcnt(0)
	s_add_u32 s24, s0, 8
	v_mov_b32_e32 v53, v5
	v_mov_b32_e32 v6, v48
	s_addc_u32 s25, s1, 0
	s_mov_b64 s[26:27], 1
	v_mov_b32_e32 v52, v4
	v_mov_b32_e32 v7, v49
.LBB0_2:                                ; =>This Inner Loop Header: Depth=1
	s_load_dwordx2 s[28:29], s[24:25], 0x0
                                        ; implicit-def: $vgpr54_vgpr55
	s_waitcnt lgkmcnt(0)
	v_or_b32_e32 v2, s29, v7
	v_cmp_ne_u64_e32 vcc, 0, v[1:2]
	s_and_saveexec_b64 s[0:1], vcc
	s_xor_b64 s[30:31], exec, s[0:1]
	s_cbranch_execz .LBB0_4
; %bb.3:                                ;   in Loop: Header=BB0_2 Depth=1
	v_cvt_f32_u32_e32 v2, s28
	v_cvt_f32_u32_e32 v3, s29
	s_sub_u32 s0, 0, s28
	s_subb_u32 s1, 0, s29
	v_mac_f32_e32 v2, 0x4f800000, v3
	v_rcp_f32_e32 v2, v2
	v_mul_f32_e32 v2, 0x5f7ffffc, v2
	v_mul_f32_e32 v3, 0x2f800000, v2
	v_trunc_f32_e32 v3, v3
	v_mac_f32_e32 v2, 0xcf800000, v3
	v_cvt_u32_f32_e32 v3, v3
	v_cvt_u32_f32_e32 v2, v2
	v_mul_lo_u32 v8, s0, v3
	v_mul_hi_u32 v9, s0, v2
	v_mul_lo_u32 v11, s1, v2
	v_mul_lo_u32 v10, s0, v2
	v_add_u32_e32 v8, v9, v8
	v_add_u32_e32 v8, v8, v11
	v_mul_hi_u32 v9, v2, v10
	v_mul_lo_u32 v11, v2, v8
	v_mul_hi_u32 v13, v2, v8
	v_mul_hi_u32 v12, v3, v10
	v_mul_lo_u32 v10, v3, v10
	v_mul_hi_u32 v14, v3, v8
	v_add_co_u32_e32 v9, vcc, v9, v11
	v_addc_co_u32_e32 v11, vcc, 0, v13, vcc
	v_mul_lo_u32 v8, v3, v8
	v_add_co_u32_e32 v9, vcc, v9, v10
	v_addc_co_u32_e32 v9, vcc, v11, v12, vcc
	v_addc_co_u32_e32 v10, vcc, 0, v14, vcc
	v_add_co_u32_e32 v8, vcc, v9, v8
	v_addc_co_u32_e32 v9, vcc, 0, v10, vcc
	v_add_co_u32_e32 v2, vcc, v2, v8
	v_addc_co_u32_e32 v3, vcc, v3, v9, vcc
	v_mul_lo_u32 v8, s0, v3
	v_mul_hi_u32 v9, s0, v2
	v_mul_lo_u32 v10, s1, v2
	v_mul_lo_u32 v11, s0, v2
	v_add_u32_e32 v8, v9, v8
	v_add_u32_e32 v8, v8, v10
	v_mul_lo_u32 v12, v2, v8
	v_mul_hi_u32 v13, v2, v11
	v_mul_hi_u32 v14, v2, v8
	;; [unrolled: 1-line block ×3, first 2 shown]
	v_mul_lo_u32 v11, v3, v11
	v_mul_hi_u32 v9, v3, v8
	v_add_co_u32_e32 v12, vcc, v13, v12
	v_addc_co_u32_e32 v13, vcc, 0, v14, vcc
	v_mul_lo_u32 v8, v3, v8
	v_add_co_u32_e32 v11, vcc, v12, v11
	v_addc_co_u32_e32 v10, vcc, v13, v10, vcc
	v_addc_co_u32_e32 v9, vcc, 0, v9, vcc
	v_add_co_u32_e32 v8, vcc, v10, v8
	v_addc_co_u32_e32 v9, vcc, 0, v9, vcc
	v_add_co_u32_e32 v8, vcc, v2, v8
	v_addc_co_u32_e32 v9, vcc, v3, v9, vcc
	v_mad_u64_u32 v[2:3], s[0:1], v6, v9, 0
	v_mul_hi_u32 v10, v6, v8
	v_add_co_u32_e32 v10, vcc, v10, v2
	v_addc_co_u32_e32 v11, vcc, 0, v3, vcc
	v_mad_u64_u32 v[2:3], s[0:1], v7, v8, 0
	v_mad_u64_u32 v[8:9], s[0:1], v7, v9, 0
	v_add_co_u32_e32 v2, vcc, v10, v2
	v_addc_co_u32_e32 v2, vcc, v11, v3, vcc
	v_addc_co_u32_e32 v3, vcc, 0, v9, vcc
	v_add_co_u32_e32 v8, vcc, v2, v8
	v_addc_co_u32_e32 v9, vcc, 0, v3, vcc
	v_mul_lo_u32 v10, s29, v8
	v_mul_lo_u32 v11, s28, v9
	v_mad_u64_u32 v[2:3], s[0:1], s28, v8, 0
	v_add3_u32 v3, v3, v11, v10
	v_sub_u32_e32 v10, v7, v3
	v_mov_b32_e32 v11, s29
	v_sub_co_u32_e32 v2, vcc, v6, v2
	v_subb_co_u32_e64 v10, s[0:1], v10, v11, vcc
	v_subrev_co_u32_e64 v11, s[0:1], s28, v2
	v_subbrev_co_u32_e64 v10, s[0:1], 0, v10, s[0:1]
	v_cmp_le_u32_e64 s[0:1], s29, v10
	v_cndmask_b32_e64 v12, 0, -1, s[0:1]
	v_cmp_le_u32_e64 s[0:1], s28, v11
	v_cndmask_b32_e64 v11, 0, -1, s[0:1]
	v_cmp_eq_u32_e64 s[0:1], s29, v10
	v_cndmask_b32_e64 v10, v12, v11, s[0:1]
	v_add_co_u32_e64 v11, s[0:1], 2, v8
	v_addc_co_u32_e64 v12, s[0:1], 0, v9, s[0:1]
	v_add_co_u32_e64 v13, s[0:1], 1, v8
	v_addc_co_u32_e64 v14, s[0:1], 0, v9, s[0:1]
	v_subb_co_u32_e32 v3, vcc, v7, v3, vcc
	v_cmp_ne_u32_e64 s[0:1], 0, v10
	v_cmp_le_u32_e32 vcc, s29, v3
	v_cndmask_b32_e64 v10, v14, v12, s[0:1]
	v_cndmask_b32_e64 v12, 0, -1, vcc
	v_cmp_le_u32_e32 vcc, s28, v2
	v_cndmask_b32_e64 v2, 0, -1, vcc
	v_cmp_eq_u32_e32 vcc, s29, v3
	v_cndmask_b32_e32 v2, v12, v2, vcc
	v_cmp_ne_u32_e32 vcc, 0, v2
	v_cndmask_b32_e64 v2, v13, v11, s[0:1]
	v_cndmask_b32_e32 v55, v9, v10, vcc
	v_cndmask_b32_e32 v54, v8, v2, vcc
.LBB0_4:                                ;   in Loop: Header=BB0_2 Depth=1
	s_andn2_saveexec_b64 s[0:1], s[30:31]
	s_cbranch_execz .LBB0_6
; %bb.5:                                ;   in Loop: Header=BB0_2 Depth=1
	v_cvt_f32_u32_e32 v2, s28
	s_sub_i32 s30, 0, s28
	v_mov_b32_e32 v55, v1
	v_rcp_iflag_f32_e32 v2, v2
	v_mul_f32_e32 v2, 0x4f7ffffe, v2
	v_cvt_u32_f32_e32 v2, v2
	v_mul_lo_u32 v3, s30, v2
	v_mul_hi_u32 v3, v2, v3
	v_add_u32_e32 v2, v2, v3
	v_mul_hi_u32 v2, v6, v2
	v_mul_lo_u32 v3, v2, s28
	v_add_u32_e32 v8, 1, v2
	v_sub_u32_e32 v3, v6, v3
	v_subrev_u32_e32 v9, s28, v3
	v_cmp_le_u32_e32 vcc, s28, v3
	v_cndmask_b32_e32 v3, v3, v9, vcc
	v_cndmask_b32_e32 v2, v2, v8, vcc
	v_add_u32_e32 v8, 1, v2
	v_cmp_le_u32_e32 vcc, s28, v3
	v_cndmask_b32_e32 v54, v2, v8, vcc
.LBB0_6:                                ;   in Loop: Header=BB0_2 Depth=1
	s_or_b64 exec, exec, s[0:1]
	v_mul_lo_u32 v8, v55, s28
	v_mul_lo_u32 v9, v54, s29
	v_mad_u64_u32 v[2:3], s[0:1], v54, s28, 0
	s_load_dwordx2 s[0:1], s[22:23], 0x0
	s_load_dwordx2 s[28:29], s[6:7], 0x0
	v_add3_u32 v3, v3, v9, v8
	v_sub_co_u32_e32 v2, vcc, v6, v2
	v_subb_co_u32_e32 v3, vcc, v7, v3, vcc
	s_waitcnt lgkmcnt(0)
	v_mul_lo_u32 v6, s0, v3
	v_mul_lo_u32 v7, s1, v2
	v_mad_u64_u32 v[4:5], s[0:1], s0, v2, v[4:5]
	v_mul_lo_u32 v3, s28, v3
	v_mul_lo_u32 v8, s29, v2
	v_mad_u64_u32 v[52:53], s[0:1], s28, v2, v[52:53]
	s_add_u32 s26, s26, 1
	s_addc_u32 s27, s27, 0
	s_add_u32 s6, s6, 8
	v_add3_u32 v53, v8, v53, v3
	s_addc_u32 s7, s7, 0
	v_mov_b32_e32 v2, s14
	s_add_u32 s22, s22, 8
	v_mov_b32_e32 v3, s15
	s_addc_u32 s23, s23, 0
	v_cmp_ge_u64_e32 vcc, s[26:27], v[2:3]
	s_add_u32 s24, s24, 8
	v_add3_u32 v5, v7, v5, v6
	s_addc_u32 s25, s25, 0
	s_cbranch_vccnz .LBB0_8
; %bb.7:                                ;   in Loop: Header=BB0_2 Depth=1
	v_mov_b32_e32 v6, v54
	v_mov_b32_e32 v7, v55
	s_branch .LBB0_2
.LBB0_8:
	s_load_dwordx2 s[0:1], s[4:5], 0x28
	s_lshl_b64 s[14:15], s[14:15], 3
	s_add_u32 s4, s18, s14
	s_addc_u32 s5, s19, s15
                                        ; implicit-def: $vgpr82
                                        ; implicit-def: $vgpr84
                                        ; implicit-def: $vgpr85
                                        ; implicit-def: $vgpr89
                                        ; implicit-def: $vgpr94
                                        ; implicit-def: $vgpr95
	s_waitcnt lgkmcnt(0)
	v_cmp_gt_u64_e32 vcc, s[0:1], v[54:55]
	v_cmp_le_u64_e64 s[0:1], s[0:1], v[54:55]
	s_and_saveexec_b64 s[6:7], s[0:1]
	s_xor_b64 s[0:1], exec, s[6:7]
; %bb.9:
	s_mov_b32 s6, 0x3483484
	v_mul_hi_u32 v1, v0, s6
                                        ; implicit-def: $vgpr4_vgpr5
	v_mul_u32_u24_e32 v1, 0x4e, v1
	v_sub_u32_e32 v82, v0, v1
	v_add_u32_e32 v84, 0x4e, v82
	v_add_u32_e32 v85, 0x9c, v82
	v_add_u32_e32 v89, 0xea, v82
	v_add_u32_e32 v94, 0x138, v82
	v_add_u32_e32 v95, 0x186, v82
                                        ; implicit-def: $vgpr0
; %bb.10:
	s_or_saveexec_b64 s[6:7], s[0:1]
                                        ; implicit-def: $vgpr26_vgpr27
                                        ; implicit-def: $vgpr2_vgpr3
                                        ; implicit-def: $vgpr22_vgpr23
                                        ; implicit-def: $vgpr6_vgpr7
                                        ; implicit-def: $vgpr30_vgpr31
                                        ; implicit-def: $vgpr10_vgpr11
                                        ; implicit-def: $vgpr34_vgpr35
                                        ; implicit-def: $vgpr14_vgpr15
                                        ; implicit-def: $vgpr38_vgpr39
                                        ; implicit-def: $vgpr18_vgpr19
                                        ; implicit-def: $vgpr46_vgpr47
                                        ; implicit-def: $vgpr42_vgpr43
	s_xor_b64 exec, exec, s[6:7]
	s_cbranch_execz .LBB0_12
; %bb.11:
	s_add_u32 s0, s16, s14
	s_mov_b32 s14, 0x3483484
	s_addc_u32 s1, s17, s15
	v_mul_hi_u32 v1, v0, s14
	s_load_dwordx2 s[0:1], s[0:1], 0x0
	v_mul_u32_u24_e32 v1, 0x4e, v1
	v_sub_u32_e32 v82, v0, v1
	s_waitcnt lgkmcnt(0)
	v_mul_lo_u32 v8, s1, v54
	v_mad_u64_u32 v[0:1], s[14:15], s20, v82, 0
	v_mul_lo_u32 v9, s0, v55
	v_mad_u64_u32 v[2:3], s[0:1], s0, v54, 0
	v_add_u32_e32 v84, 0x4e, v82
	v_add_u32_e32 v85, 0x9c, v82
	v_mad_u64_u32 v[6:7], s[0:1], s21, v82, v[1:2]
	v_add3_u32 v3, v3, v9, v8
	v_lshlrev_b64 v[2:3], 4, v[2:3]
	v_mov_b32_e32 v1, v6
	v_mov_b32_e32 v6, s9
	v_add_co_u32_e64 v7, s[0:1], s8, v2
	v_add_u32_e32 v8, 0x1d4, v82
	v_addc_co_u32_e64 v6, s[0:1], v6, v3, s[0:1]
	v_lshlrev_b64 v[2:3], 4, v[4:5]
	v_mad_u64_u32 v[4:5], s[0:1], s20, v8, 0
	v_add_co_u32_e64 v9, s[0:1], v7, v2
	v_mov_b32_e32 v2, v5
	v_addc_co_u32_e64 v10, s[0:1], v6, v3, s[0:1]
	v_mad_u64_u32 v[2:3], s[0:1], s21, v8, v[2:3]
	v_mad_u64_u32 v[6:7], s[0:1], s20, v84, 0
	v_lshlrev_b64 v[0:1], 4, v[0:1]
	v_mov_b32_e32 v5, v2
	v_add_co_u32_e64 v49, s[0:1], v9, v0
	v_mov_b32_e32 v2, v7
	v_addc_co_u32_e64 v50, s[0:1], v10, v1, s[0:1]
	v_lshlrev_b64 v[0:1], 4, v[4:5]
	v_mad_u64_u32 v[2:3], s[0:1], s21, v84, v[2:3]
	v_add_u32_e32 v5, 0x222, v82
	v_mad_u64_u32 v[3:4], s[0:1], s20, v5, 0
	v_add_co_u32_e64 v56, s[0:1], v9, v0
	v_mov_b32_e32 v7, v2
	v_mov_b32_e32 v2, v4
	v_addc_co_u32_e64 v57, s[0:1], v10, v1, s[0:1]
	v_mad_u64_u32 v[4:5], s[0:1], s21, v5, v[2:3]
	v_lshlrev_b64 v[0:1], 4, v[6:7]
	v_mad_u64_u32 v[5:6], s[0:1], s20, v85, 0
	v_add_co_u32_e64 v58, s[0:1], v9, v0
	v_mov_b32_e32 v2, v6
	v_addc_co_u32_e64 v59, s[0:1], v10, v1, s[0:1]
	v_lshlrev_b64 v[0:1], 4, v[3:4]
	v_mad_u64_u32 v[2:3], s[0:1], s21, v85, v[2:3]
	v_add_u32_e32 v7, 0x270, v82
	v_mad_u64_u32 v[3:4], s[0:1], s20, v7, 0
	v_add_co_u32_e64 v60, s[0:1], v9, v0
	v_mov_b32_e32 v6, v2
	v_mov_b32_e32 v2, v4
	v_addc_co_u32_e64 v61, s[0:1], v10, v1, s[0:1]
	v_lshlrev_b64 v[0:1], 4, v[5:6]
	v_mad_u64_u32 v[4:5], s[0:1], s21, v7, v[2:3]
	v_add_u32_e32 v89, 0xea, v82
	v_mad_u64_u32 v[5:6], s[0:1], s20, v89, 0
	v_add_co_u32_e64 v62, s[0:1], v9, v0
	v_mov_b32_e32 v2, v6
	v_addc_co_u32_e64 v63, s[0:1], v10, v1, s[0:1]
	v_lshlrev_b64 v[0:1], 4, v[3:4]
	v_mad_u64_u32 v[2:3], s[0:1], s21, v89, v[2:3]
	v_add_u32_e32 v7, 0x2be, v82
	v_mad_u64_u32 v[3:4], s[0:1], s20, v7, 0
	v_add_co_u32_e64 v64, s[0:1], v9, v0
	v_mov_b32_e32 v6, v2
	v_mov_b32_e32 v2, v4
	v_addc_co_u32_e64 v65, s[0:1], v10, v1, s[0:1]
	v_lshlrev_b64 v[0:1], 4, v[5:6]
	v_mad_u64_u32 v[4:5], s[0:1], s21, v7, v[2:3]
	v_add_u32_e32 v94, 0x138, v82
	;; [unrolled: 15-line block ×3, first 2 shown]
	v_mad_u64_u32 v[5:6], s[0:1], s20, v95, 0
	v_add_co_u32_e64 v70, s[0:1], v9, v0
	v_mov_b32_e32 v2, v6
	v_addc_co_u32_e64 v71, s[0:1], v10, v1, s[0:1]
	v_lshlrev_b64 v[0:1], 4, v[3:4]
	v_mad_u64_u32 v[2:3], s[0:1], s21, v95, v[2:3]
	v_add_u32_e32 v7, 0x35a, v82
	v_mad_u64_u32 v[3:4], s[0:1], s20, v7, 0
	v_add_co_u32_e64 v72, s[0:1], v9, v0
	v_mov_b32_e32 v6, v2
	v_mov_b32_e32 v2, v4
	v_addc_co_u32_e64 v73, s[0:1], v10, v1, s[0:1]
	v_lshlrev_b64 v[0:1], 4, v[5:6]
	v_mad_u64_u32 v[4:5], s[0:1], s21, v7, v[2:3]
	v_add_co_u32_e64 v74, s[0:1], v9, v0
	v_addc_co_u32_e64 v75, s[0:1], v10, v1, s[0:1]
	v_lshlrev_b64 v[0:1], 4, v[3:4]
	v_add_co_u32_e64 v76, s[0:1], v9, v0
	v_addc_co_u32_e64 v77, s[0:1], v10, v1, s[0:1]
	global_load_dwordx4 v[40:43], v[49:50], off
	global_load_dwordx4 v[44:47], v[56:57], off
	;; [unrolled: 1-line block ×12, first 2 shown]
.LBB0_12:
	s_or_b64 exec, exec, s[6:7]
	s_mov_b32 s0, 0xaaaaaaab
	v_mul_hi_u32 v51, v48, s0
	s_waitcnt vmcnt(2)
	v_add_f64 v[70:71], v[4:5], -v[20:21]
	s_waitcnt vmcnt(0)
	v_add_f64 v[74:75], v[0:1], -v[24:25]
	v_add_f64 v[49:50], v[40:41], -v[44:45]
	;; [unrolled: 1-line block ×4, first 2 shown]
	v_lshrrev_b32_e32 v36, 1, v51
	v_lshl_add_u32 v36, v36, 1, v36
	v_add_f64 v[62:63], v[12:13], -v[32:33]
	v_sub_u32_e32 v36, v48, v36
	v_add_f64 v[66:67], v[8:9], -v[28:29]
	v_mul_u32_u24_e32 v36, 0x3a8, v36
	v_lshlrev_b32_e32 v93, 3, v36
	v_add_u32_e32 v96, 0, v93
	v_fma_f64 v[68:69], v[4:5], 2.0, -v[70:71]
	v_lshlrev_b32_e32 v4, 3, v82
	v_lshl_add_u32 v33, v84, 4, v96
	v_add_u32_e32 v83, v96, v4
	v_add3_u32 v90, 0, v4, v93
	v_lshlrev_b32_e32 v4, 3, v84
	v_fma_f64 v[72:73], v[0:1], 2.0, -v[74:75]
	v_lshl_add_u32 v0, v85, 4, v96
	v_sub_u32_e32 v86, v33, v4
	v_lshlrev_b32_e32 v4, 3, v85
	v_add_f64 v[20:21], v[18:19], -v[38:39]
	v_fma_f64 v[56:57], v[42:43], 2.0, -v[58:59]
	v_fma_f64 v[42:43], v[16:17], 2.0, -v[44:45]
	v_lshl_add_u32 v1, v89, 4, v96
	v_sub_u32_e32 v87, v0, v4
	v_lshlrev_b32_e32 v4, 3, v89
	v_add_f64 v[16:17], v[14:15], -v[34:35]
	v_fma_f64 v[60:61], v[12:13], 2.0, -v[62:63]
	v_lshl_add_u32 v36, v94, 4, v96
	v_sub_u32_e32 v88, v1, v4
	v_lshlrev_b32_e32 v4, 3, v94
	v_add_f64 v[12:13], v[10:11], -v[30:31]
	;; [unrolled: 5-line block ×3, first 2 shown]
	v_sub_u32_e32 v92, v37, v4
	v_add_f64 v[4:5], v[2:3], -v[26:27]
	v_fma_f64 v[47:48], v[40:41], 2.0, -v[49:50]
	v_fma_f64 v[18:19], v[18:19], 2.0, -v[20:21]
	;; [unrolled: 1-line block ×4, first 2 shown]
	v_lshl_add_u32 v32, v82, 4, v96
	v_fma_f64 v[6:7], v[6:7], 2.0, -v[8:9]
	s_load_dwordx2 s[4:5], s[4:5], 0x0
	v_fma_f64 v[2:3], v[2:3], 2.0, -v[4:5]
	ds_write_b128 v32, v[47:50]
	ds_write_b128 v33, v[42:45]
	;; [unrolled: 1-line block ×6, first 2 shown]
	v_add_u32_e32 v75, 0x1000, v90
	s_waitcnt lgkmcnt(0)
	s_barrier
	v_add_u32_e32 v76, 0xc00, v90
	v_add_u32_e32 v74, 0x1800, v90
	ds_read_b64 v[60:61], v83
	ds_read_b64 v[62:63], v86
	;; [unrolled: 1-line block ×6, first 2 shown]
	ds_read2_b64 v[40:43], v76 offset0:84 offset1:162
	ds_read2_b64 v[28:31], v75 offset0:112 offset1:190
	;; [unrolled: 1-line block ×3, first 2 shown]
	s_waitcnt lgkmcnt(0)
	s_barrier
	ds_write_b128 v32, v[56:59]
	ds_write_b128 v33, v[18:21]
	ds_write_b128 v0, v[14:17]
	ds_write_b128 v1, v[10:13]
	ds_write_b128 v36, v[6:9]
	ds_write_b128 v37, v[2:5]
	v_and_b32_e32 v18, 1, v82
	v_lshlrev_b32_e32 v0, 4, v18
	s_waitcnt lgkmcnt(0)
	s_barrier
	global_load_dwordx4 v[32:35], v0, s[12:13]
	ds_read2_b64 v[36:39], v76 offset0:84 offset1:162
	ds_read2_b64 v[44:47], v75 offset0:112 offset1:190
	;; [unrolled: 1-line block ×3, first 2 shown]
	s_movk_i32 s1, 0x1fc
	v_lshlrev_b32_e32 v56, 1, v84
	s_movk_i32 s0, 0xfc
	v_lshlrev_b32_e32 v59, 1, v82
	v_and_or_b32 v57, v56, s1, v18
	v_and_or_b32 v19, v59, s0, v18
	v_lshl_add_u32 v78, v57, 3, v96
	s_movk_i32 s0, 0x3fc
	v_lshlrev_b32_e32 v57, 1, v85
	v_lshl_add_u32 v77, v19, 3, v96
	v_and_or_b32 v19, v57, s0, v18
	s_movk_i32 s1, 0x7fc
	v_lshlrev_b32_e32 v58, 1, v95
	v_lshl_add_u32 v79, v19, 3, v96
	v_lshlrev_b32_e32 v19, 1, v94
	v_and_or_b32 v19, v19, s0, v18
	v_lshl_add_u32 v81, v19, 3, v96
	s_waitcnt vmcnt(0) lgkmcnt(2)
	v_mul_f64 v[0:1], v[38:39], v[34:35]
	s_waitcnt lgkmcnt(1)
	v_mul_f64 v[2:3], v[44:45], v[34:35]
	v_mul_f64 v[4:5], v[46:47], v[34:35]
	s_waitcnt lgkmcnt(0)
	v_mul_f64 v[6:7], v[48:49], v[34:35]
	v_mul_f64 v[8:9], v[50:51], v[34:35]
	;; [unrolled: 1-line block ×3, first 2 shown]
	v_fma_f64 v[0:1], v[42:43], v[32:33], v[0:1]
	v_fma_f64 v[2:3], v[28:29], v[32:33], v[2:3]
	v_fma_f64 v[12:13], v[30:31], v[32:33], v[4:5]
	v_fma_f64 v[6:7], v[24:25], v[32:33], v[6:7]
	v_fma_f64 v[14:15], v[26:27], v[32:33], v[8:9]
	v_fma_f64 v[10:11], v[40:41], v[32:33], v[10:11]
	v_add_f64 v[0:1], v[62:63], -v[0:1]
	v_add_f64 v[4:5], v[64:65], -v[2:3]
	;; [unrolled: 1-line block ×6, first 2 shown]
	v_fma_f64 v[22:23], v[62:63], 2.0, -v[0:1]
	v_and_or_b32 v62, v58, s1, v18
	v_lshlrev_b32_e32 v58, 1, v89
	v_and_or_b32 v18, v58, s0, v18
	v_fma_f64 v[2:3], v[64:65], 2.0, -v[4:5]
	v_fma_f64 v[6:7], v[66:67], 2.0, -v[8:9]
	;; [unrolled: 1-line block ×4, first 2 shown]
	v_lshl_add_u32 v80, v18, 3, v96
	v_lshl_add_u32 v96, v62, 3, v96
	ds_read_b64 v[62:63], v83
	ds_read_b64 v[64:65], v86
	;; [unrolled: 1-line block ×6, first 2 shown]
	v_fma_f64 v[60:61], v[60:61], 2.0, -v[20:21]
	s_movk_i32 s0, 0x48
	v_cmp_gt_u32_e64 s[0:1], s0, v82
	s_waitcnt lgkmcnt(0)
	s_barrier
	ds_write2_b64 v77, v[60:61], v[20:21] offset1:2
	ds_write2_b64 v78, v[22:23], v[0:1] offset1:2
	;; [unrolled: 1-line block ×6, first 2 shown]
	s_waitcnt lgkmcnt(0)
	s_barrier
	s_and_saveexec_b64 s[6:7], s[0:1]
	s_cbranch_execz .LBB0_14
; %bb.13:
	v_add_u32_e32 v0, 0x400, v90
	v_add_u32_e32 v4, 0x800, v90
	ds_read_b64 v[60:61], v83
	ds_read2_b64 v[20:23], v90 offset0:72 offset1:144
	ds_read2_b64 v[0:3], v0 offset0:88 offset1:160
	;; [unrolled: 1-line block ×6, first 2 shown]
.LBB0_14:
	s_or_b64 exec, exec, s[6:7]
	v_mul_f64 v[40:41], v[40:41], v[34:35]
	v_mul_f64 v[42:43], v[42:43], v[34:35]
	;; [unrolled: 1-line block ×6, first 2 shown]
	s_waitcnt lgkmcnt(0)
	s_barrier
	v_fma_f64 v[34:35], v[36:37], v[32:33], -v[40:41]
	v_fma_f64 v[36:37], v[38:39], v[32:33], -v[42:43]
	;; [unrolled: 1-line block ×6, first 2 shown]
	v_add_f64 v[28:29], v[62:63], -v[34:35]
	v_add_f64 v[32:33], v[64:65], -v[36:37]
	;; [unrolled: 1-line block ×6, first 2 shown]
	v_fma_f64 v[48:49], v[62:63], 2.0, -v[28:29]
	v_fma_f64 v[30:31], v[64:65], 2.0, -v[32:33]
	;; [unrolled: 1-line block ×6, first 2 shown]
	ds_write2_b64 v77, v[48:49], v[28:29] offset1:2
	ds_write2_b64 v78, v[30:31], v[32:33] offset1:2
	ds_write2_b64 v79, v[34:35], v[36:37] offset1:2
	ds_write2_b64 v80, v[38:39], v[40:41] offset1:2
	ds_write2_b64 v81, v[42:43], v[44:45] offset1:2
	ds_write2_b64 v96, v[46:47], v[24:25] offset1:2
	s_waitcnt lgkmcnt(0)
	s_barrier
	s_and_saveexec_b64 s[6:7], s[0:1]
	s_cbranch_execz .LBB0_16
; %bb.15:
	v_add_u32_e32 v24, 0x400, v90
	ds_read_b64 v[48:49], v83
	ds_read2_b64 v[28:31], v90 offset0:72 offset1:144
	ds_read2_b64 v[32:35], v24 offset0:88 offset1:160
	v_add_u32_e32 v24, 0x800, v90
	ds_read2_b64 v[36:39], v24 offset0:104 offset1:176
	v_add_u32_e32 v24, 0xc00, v90
	;; [unrolled: 2-line block ×4, first 2 shown]
	ds_read2_b64 v[24:27], v24 offset0:24 offset1:96
.LBB0_16:
	s_or_b64 exec, exec, s[6:7]
	v_and_b32_e32 v96, 3, v82
	v_mul_u32_u24_e32 v50, 12, v96
	v_lshlrev_b32_e32 v50, 4, v50
	global_load_dwordx4 v[62:65], v50, s[12:13] offset:32
	global_load_dwordx4 v[66:69], v50, s[12:13] offset:48
	;; [unrolled: 1-line block ×12, first 2 shown]
	s_waitcnt vmcnt(0) lgkmcnt(0)
	s_barrier
	v_mul_f64 v[50:51], v[28:29], v[64:65]
	v_mul_f64 v[64:65], v[20:21], v[64:65]
	v_mul_f64 v[70:71], v[30:31], v[68:69]
	v_mul_f64 v[80:81], v[22:23], v[68:69]
	v_mul_f64 v[133:134], v[32:33], v[74:75]
	v_mul_f64 v[74:75], v[0:1], v[74:75]
	v_mul_f64 v[135:136], v[34:35], v[99:100]
	v_mul_f64 v[99:100], v[2:3], v[99:100]
	v_mul_f64 v[137:138], v[36:37], v[103:104]
	v_mul_f64 v[103:104], v[4:5], v[103:104]
	v_mul_f64 v[139:140], v[38:39], v[107:108]
	v_mul_f64 v[107:108], v[6:7], v[107:108]
	v_mul_f64 v[141:142], v[40:41], v[111:112]
	v_mul_f64 v[111:112], v[8:9], v[111:112]
	v_mul_f64 v[143:144], v[42:43], v[115:116]
	v_mul_f64 v[115:116], v[10:11], v[115:116]
	v_mul_f64 v[145:146], v[44:45], v[119:120]
	v_mul_f64 v[119:120], v[12:13], v[119:120]
	v_mul_f64 v[147:148], v[46:47], v[123:124]
	v_mul_f64 v[123:124], v[14:15], v[123:124]
	v_mul_f64 v[149:150], v[24:25], v[127:128]
	v_mul_f64 v[127:128], v[16:17], v[127:128]
	v_mul_f64 v[151:152], v[26:27], v[131:132]
	v_mul_f64 v[131:132], v[18:19], v[131:132]
	v_fma_f64 v[76:77], v[20:21], v[62:63], v[50:51]
	v_fma_f64 v[78:79], v[28:29], v[62:63], -v[64:65]
	v_fma_f64 v[68:69], v[22:23], v[66:67], v[70:71]
	v_fma_f64 v[70:71], v[30:31], v[66:67], -v[80:81]
	;; [unrolled: 2-line block ×12, first 2 shown]
	v_lshrrev_b32_e32 v100, 2, v82
	s_and_saveexec_b64 s[6:7], s[0:1]
	s_cbranch_execz .LBB0_18
; %bb.17:
	v_add_f64 v[24:25], v[78:79], -v[18:19]
	s_mov_b32 s22, 0x4bc48dbf
	s_mov_b32 s23, 0xbfcea1e5
	v_add_f64 v[97:98], v[70:71], -v[16:17]
	v_add_f64 v[101:102], v[76:77], v[80:81]
	s_mov_b32 s20, 0x93053d00
	s_mov_b32 s31, 0x3fddbe06
	;; [unrolled: 1-line block ×3, first 2 shown]
	v_mul_f64 v[103:104], v[24:25], s[22:23]
	s_mov_b32 s21, 0xbfef11f4
	v_add_f64 v[105:106], v[66:67], -v[42:43]
	v_add_f64 v[107:108], v[68:69], v[74:75]
	v_mul_f64 v[109:110], v[97:98], s[30:31]
	s_mov_b32 s26, 0x24c2f84
	s_mov_b32 s24, 0xe00740e9
	;; [unrolled: 1-line block ×3, first 2 shown]
	v_fma_f64 v[111:112], v[101:102], s[20:21], -v[103:104]
	s_mov_b32 s25, 0x3fec55a7
	v_add_f64 v[72:73], v[62:63], -v[40:41]
	v_add_f64 v[113:114], v[64:65], v[14:15]
	v_mul_f64 v[115:116], v[105:106], s[26:27]
	v_fma_f64 v[117:118], v[107:108], s[24:25], -v[109:110]
	s_mov_b32 s42, 0x42a4c3d2
	s_mov_b32 s28, 0xd0032e0c
	v_add_f64 v[111:112], v[60:61], v[111:112]
	s_mov_b32 s43, 0x3fea55e2
	s_mov_b32 s29, 0xbfe7f3cc
	v_add_f64 v[2:3], v[36:37], -v[38:39]
	v_add_f64 v[46:47], v[50:51], v[12:13]
	v_fma_f64 v[103:104], v[101:102], s[20:21], v[103:104]
	v_mul_f64 v[119:120], v[72:73], s[42:43]
	v_fma_f64 v[121:122], v[113:114], s[28:29], -v[115:116]
	v_mul_f64 v[123:124], v[24:25], s[26:27]
	v_add_f64 v[111:112], v[117:118], v[111:112]
	s_mov_b32 s18, 0x66966769
	s_mov_b32 s16, 0x2ef20147
	;; [unrolled: 1-line block ×6, first 2 shown]
	v_add_f64 v[0:1], v[28:29], -v[30:31]
	v_add_f64 v[6:7], v[32:33], v[34:35]
	v_mul_f64 v[10:11], v[2:3], s[16:17]
	v_fma_f64 v[109:110], v[107:108], s[24:25], v[109:110]
	v_add_f64 v[103:104], v[60:61], v[103:104]
	v_fma_f64 v[117:118], v[46:47], s[34:35], -v[119:120]
	v_mul_f64 v[125:126], v[97:98], s[18:19]
	v_fma_f64 v[127:128], v[101:102], s[28:29], -v[123:124]
	v_add_f64 v[111:112], v[121:122], v[111:112]
	s_mov_b32 s8, 0xebaa3ed8
	s_mov_b32 s14, 0xb2365da1
	;; [unrolled: 1-line block ×6, first 2 shown]
	v_add_f64 v[4:5], v[20:21], v[22:23]
	v_mul_f64 v[8:9], v[0:1], s[18:19]
	v_fma_f64 v[44:45], v[6:7], s[14:15], -v[10:11]
	v_fma_f64 v[115:116], v[113:114], s[28:29], v[115:116]
	v_add_f64 v[103:104], v[109:110], v[103:104]
	v_mul_f64 v[109:110], v[105:106], s[36:37]
	v_fma_f64 v[121:122], v[107:108], s[8:9], -v[125:126]
	v_add_f64 v[127:128], v[60:61], v[127:128]
	v_add_f64 v[111:112], v[117:118], v[111:112]
	s_mov_b32 s45, 0x3fcea1e5
	s_mov_b32 s44, s22
	v_fma_f64 v[26:27], v[4:5], s[8:9], -v[8:9]
	v_fma_f64 v[117:118], v[46:47], s[34:35], v[119:120]
	v_add_f64 v[103:104], v[115:116], v[103:104]
	v_mul_f64 v[115:116], v[72:73], s[44:45]
	v_fma_f64 v[119:120], v[113:114], s[34:35], -v[109:110]
	v_add_f64 v[121:122], v[121:122], v[127:128]
	v_add_f64 v[44:45], v[44:45], v[111:112]
	v_mul_f64 v[111:112], v[2:3], s[30:31]
	s_mov_b32 s41, 0x3fe5384d
	s_mov_b32 s40, s26
	v_add_f64 v[103:104], v[117:118], v[103:104]
	v_fma_f64 v[117:118], v[46:47], s[20:21], -v[115:116]
	v_fma_f64 v[10:11], v[6:7], s[14:15], v[10:11]
	v_add_f64 v[119:120], v[119:120], v[121:122]
	v_add_f64 v[26:27], v[26:27], v[44:45]
	v_mul_f64 v[44:45], v[24:25], s[16:17]
	v_fma_f64 v[121:122], v[101:102], s[28:29], v[123:124]
	v_fma_f64 v[123:124], v[6:7], s[24:25], -v[111:112]
	v_fma_f64 v[8:9], v[4:5], s[8:9], v[8:9]
	v_fma_f64 v[125:126], v[107:108], s[8:9], v[125:126]
	v_add_f64 v[10:11], v[10:11], v[103:104]
	v_add_f64 v[117:118], v[117:118], v[119:120]
	v_mul_f64 v[119:120], v[97:98], s[40:41]
	v_fma_f64 v[127:128], v[101:102], s[14:15], -v[44:45]
	v_mul_f64 v[103:104], v[0:1], s[16:17]
	v_add_f64 v[121:122], v[60:61], v[121:122]
	v_fma_f64 v[44:45], v[101:102], s[14:15], v[44:45]
	s_mov_b32 s39, 0xbfefc445
	s_mov_b32 s38, s18
	v_add_f64 v[117:118], v[123:124], v[117:118]
	v_mul_f64 v[123:124], v[105:106], s[30:31]
	v_fma_f64 v[129:130], v[107:108], s[28:29], -v[119:120]
	v_add_f64 v[127:128], v[60:61], v[127:128]
	v_add_f64 v[8:9], v[8:9], v[10:11]
	v_fma_f64 v[10:11], v[4:5], s[14:15], -v[103:104]
	v_fma_f64 v[109:110], v[113:114], s[34:35], v[109:110]
	v_add_f64 v[121:122], v[125:126], v[121:122]
	v_mul_f64 v[125:126], v[72:73], s[38:39]
	v_fma_f64 v[131:132], v[113:114], s[24:25], -v[123:124]
	v_fma_f64 v[119:120], v[107:108], s[28:29], v[119:120]
	v_add_f64 v[127:128], v[129:130], v[127:128]
	v_add_f64 v[44:45], v[60:61], v[44:45]
	v_fma_f64 v[115:116], v[46:47], s[20:21], v[115:116]
	v_add_f64 v[10:11], v[10:11], v[117:118]
	v_add_f64 v[109:110], v[109:110], v[121:122]
	v_mul_f64 v[117:118], v[2:3], s[44:45]
	v_fma_f64 v[121:122], v[46:47], s[8:9], -v[125:126]
	v_fma_f64 v[123:124], v[113:114], s[24:25], v[123:124]
	v_add_f64 v[127:128], v[131:132], v[127:128]
	v_add_f64 v[44:45], v[119:120], v[44:45]
	v_fma_f64 v[111:112], v[6:7], s[24:25], v[111:112]
	v_mul_f64 v[131:132], v[24:25], s[38:39]
	v_add_f64 v[109:110], v[115:116], v[109:110]
	v_mul_f64 v[115:116], v[0:1], s[42:43]
	v_fma_f64 v[129:130], v[6:7], s[20:21], -v[117:118]
	v_fma_f64 v[117:118], v[6:7], s[20:21], v[117:118]
	v_add_f64 v[119:120], v[121:122], v[127:128]
	v_fma_f64 v[121:122], v[46:47], s[8:9], v[125:126]
	v_add_f64 v[44:45], v[123:124], v[44:45]
	v_mul_f64 v[125:126], v[97:98], s[22:23]
	v_add_f64 v[109:110], v[111:112], v[109:110]
	v_fma_f64 v[111:112], v[4:5], s[34:35], -v[115:116]
	v_fma_f64 v[127:128], v[101:102], s[8:9], -v[131:132]
	s_mov_b32 s43, 0x3fedeba7
	v_add_f64 v[119:120], v[129:130], v[119:120]
	s_mov_b32 s42, s16
	v_add_f64 v[44:45], v[121:122], v[44:45]
	v_fma_f64 v[103:104], v[4:5], s[14:15], v[103:104]
	v_mul_f64 v[123:124], v[105:106], s[42:43]
	v_fma_f64 v[129:130], v[107:108], s[20:21], -v[125:126]
	v_add_f64 v[127:128], v[60:61], v[127:128]
	v_fma_f64 v[125:126], v[107:108], s[20:21], v[125:126]
	v_add_f64 v[111:112], v[111:112], v[119:120]
	v_fma_f64 v[119:120], v[101:102], s[8:9], v[131:132]
	v_mul_f64 v[131:132], v[24:25], s[36:37]
	v_add_f64 v[44:45], v[117:118], v[44:45]
	v_add_f64 v[117:118], v[60:61], v[76:77]
	;; [unrolled: 1-line block ×3, first 2 shown]
	v_mul_f64 v[109:110], v[72:73], s[30:31]
	v_fma_f64 v[121:122], v[113:114], s[14:15], -v[123:124]
	v_add_f64 v[127:128], v[129:130], v[127:128]
	v_add_f64 v[119:120], v[60:61], v[119:120]
	v_mul_f64 v[133:134], v[97:98], s[16:17]
	v_fma_f64 v[135:136], v[101:102], s[34:35], -v[131:132]
	v_add_f64 v[117:118], v[117:118], v[68:69]
	v_fma_f64 v[123:124], v[113:114], s[14:15], v[123:124]
	v_mul_f64 v[129:130], v[2:3], s[36:37]
	v_fma_f64 v[137:138], v[46:47], s[24:25], -v[109:110]
	v_add_f64 v[121:122], v[121:122], v[127:128]
	v_add_f64 v[119:120], v[125:126], v[119:120]
	v_fma_f64 v[127:128], v[107:108], s[14:15], -v[133:134]
	v_add_f64 v[135:136], v[60:61], v[135:136]
	v_mul_f64 v[139:140], v[105:106], s[22:23]
	v_add_f64 v[117:118], v[117:118], v[64:65]
	v_fma_f64 v[109:110], v[46:47], s[24:25], v[109:110]
	v_fma_f64 v[125:126], v[6:7], s[34:35], -v[129:130]
	v_add_f64 v[121:122], v[137:138], v[121:122]
	v_add_f64 v[119:120], v[123:124], v[119:120]
	v_mul_f64 v[137:138], v[72:73], s[40:41]
	v_add_f64 v[127:128], v[127:128], v[135:136]
	v_fma_f64 v[135:136], v[113:114], s[20:21], -v[139:140]
	v_add_f64 v[117:118], v[117:118], v[50:51]
	v_mul_f64 v[97:98], v[97:98], s[36:37]
	v_fma_f64 v[131:132], v[101:102], s[34:35], v[131:132]
	v_add_f64 v[121:122], v[125:126], v[121:122]
	v_add_f64 v[109:110], v[109:110], v[119:120]
	v_mul_f64 v[119:120], v[0:1], s[30:31]
	s_mov_b32 s31, 0xbfddbe06
	v_fma_f64 v[125:126], v[6:7], s[34:35], v[129:130]
	v_fma_f64 v[129:130], v[46:47], s[28:29], -v[137:138]
	v_add_f64 v[127:128], v[135:136], v[127:128]
	v_mul_f64 v[24:25], v[24:25], s[30:31]
	v_add_f64 v[117:118], v[117:118], v[32:33]
	v_mul_f64 v[105:106], v[105:106], s[38:39]
	;; [unrolled: 2-line block ×3, first 2 shown]
	v_fma_f64 v[139:140], v[113:114], s[20:21], v[139:140]
	v_add_f64 v[109:110], v[125:126], v[109:110]
	v_add_f64 v[127:128], v[129:130], v[127:128]
	v_fma_f64 v[129:130], v[101:102], s[24:25], v[24:25]
	v_add_f64 v[117:118], v[117:118], v[20:21]
	v_fma_f64 v[24:25], v[101:102], s[24:25], -v[24:25]
	v_fma_f64 v[101:102], v[107:108], s[14:15], v[133:134]
	v_fma_f64 v[133:134], v[107:108], s[34:35], v[97:98]
	v_fma_f64 v[97:98], v[107:108], s[34:35], -v[97:98]
	v_mul_f64 v[125:126], v[2:3], s[18:19]
	v_mul_f64 v[2:3], v[2:3], s[26:27]
	v_add_f64 v[129:130], v[60:61], v[129:130]
	v_add_f64 v[117:118], v[117:118], v[22:23]
	;; [unrolled: 1-line block ×4, first 2 shown]
	v_mul_f64 v[123:124], v[0:1], s[26:27]
	v_mul_f64 v[0:1], v[0:1], s[22:23]
	v_fma_f64 v[60:61], v[6:7], s[8:9], -v[125:126]
	v_fma_f64 v[115:116], v[4:5], s[34:35], v[115:116]
	v_add_f64 v[129:130], v[133:134], v[129:130]
	v_fma_f64 v[133:134], v[113:114], s[8:9], v[105:106]
	v_add_f64 v[117:118], v[117:118], v[34:35]
	v_fma_f64 v[105:106], v[113:114], s[8:9], -v[105:106]
	v_add_f64 v[24:25], v[97:98], v[24:25]
	v_fma_f64 v[113:114], v[46:47], s[14:15], v[72:73]
	v_fma_f64 v[97:98], v[46:47], s[28:29], v[137:138]
	v_add_f64 v[101:102], v[139:140], v[101:102]
	v_fma_f64 v[46:47], v[46:47], s[14:15], -v[72:73]
	v_add_f64 v[129:130], v[133:134], v[129:130]
	v_add_f64 v[117:118], v[117:118], v[12:13]
	v_fma_f64 v[72:73], v[6:7], s[8:9], v[125:126]
	v_add_f64 v[24:25], v[105:106], v[24:25]
	v_fma_f64 v[105:106], v[6:7], s[28:29], v[2:3]
	v_fma_f64 v[2:3], v[6:7], s[28:29], -v[2:3]
	v_add_f64 v[97:98], v[97:98], v[101:102]
	v_fma_f64 v[135:136], v[4:5], s[28:29], -v[123:124]
	v_add_f64 v[113:114], v[113:114], v[129:130]
	v_add_f64 v[117:118], v[117:118], v[14:15]
	v_fma_f64 v[123:124], v[4:5], s[28:29], v[123:124]
	v_add_f64 v[6:7], v[46:47], v[24:25]
	v_add_f64 v[24:25], v[60:61], v[127:128]
	v_fma_f64 v[60:61], v[4:5], s[20:21], v[0:1]
	v_fma_f64 v[46:47], v[4:5], s[24:25], v[119:120]
	v_add_f64 v[72:73], v[72:73], v[97:98]
	v_add_f64 v[101:102], v[105:106], v[113:114]
	;; [unrolled: 1-line block ×3, first 2 shown]
	v_fma_f64 v[0:1], v[4:5], s[20:21], -v[0:1]
	v_add_f64 v[2:3], v[2:3], v[6:7]
	v_fma_f64 v[107:108], v[4:5], s[24:25], -v[119:120]
	v_add_f64 v[4:5], v[115:116], v[44:45]
	v_add_f64 v[44:45], v[123:124], v[109:110]
	;; [unrolled: 1-line block ×7, first 2 shown]
	v_mul_u32_u24_e32 v2, 52, v100
	v_add_f64 v[24:25], v[107:108], v[24:25]
	v_or_b32_e32 v2, v2, v96
	v_lshlrev_b32_e32 v2, 3, v2
	v_add3_u32 v2, 0, v2, v93
	ds_write2_b64 v2, v[97:98], v[60:61] offset1:4
	ds_write2_b64 v2, v[46:47], v[44:45] offset0:8 offset1:12
	ds_write2_b64 v2, v[4:5], v[103:104] offset0:16 offset1:20
	;; [unrolled: 1-line block ×5, first 2 shown]
	ds_write_b64 v2, v[0:1] offset:384
.LBB0_18:
	s_or_b64 exec, exec, s[6:7]
	v_add_u32_e32 v97, 0xc00, v90
	v_add_u32_e32 v98, 0x1000, v90
	s_waitcnt lgkmcnt(0)
	s_barrier
	ds_read2_b64 v[0:3], v97 offset0:84 offset1:162
	ds_read2_b64 v[4:7], v98 offset0:112 offset1:190
	ds_read_b64 v[72:73], v83
	ds_read_b64 v[46:47], v86
	;; [unrolled: 1-line block ×4, first 2 shown]
	v_add_u32_e32 v99, 0x1800, v90
	ds_read2_b64 v[8:11], v99 offset0:12 offset1:90
	ds_read_b64 v[60:61], v91
	ds_read_b64 v[44:45], v92
	s_waitcnt lgkmcnt(0)
	s_barrier
	s_and_saveexec_b64 s[6:7], s[0:1]
	s_cbranch_execz .LBB0_20
; %bb.19:
	v_add_f64 v[101:102], v[48:49], v[78:79]
	v_add_f64 v[76:77], v[76:77], -v[80:81]
	v_add_f64 v[68:69], v[68:69], -v[74:75]
	v_add_f64 v[78:79], v[78:79], v[18:19]
	s_mov_b32 s16, 0xe00740e9
	s_mov_b32 s18, 0x1ea71119
	;; [unrolled: 1-line block ×4, first 2 shown]
	v_add_f64 v[80:81], v[101:102], v[70:71]
	s_mov_b32 s40, 0xd0032e0c
	s_mov_b32 s46, 0x93053d00
	;; [unrolled: 1-line block ×7, first 2 shown]
	v_add_f64 v[80:81], v[80:81], v[66:67]
	s_mov_b32 s47, 0xbfef11f4
	v_add_f64 v[70:71], v[70:71], v[16:17]
	v_mul_f64 v[101:102], v[78:79], s[18:19]
	v_mul_f64 v[103:104], v[78:79], s[24:25]
	;; [unrolled: 1-line block ×4, first 2 shown]
	s_mov_b32 s8, 0x4267c47c
	v_add_f64 v[80:81], v[80:81], v[62:63]
	s_mov_b32 s0, 0x42a4c3d2
	s_mov_b32 s20, 0x66966769
	;; [unrolled: 1-line block ×7, first 2 shown]
	v_add_f64 v[80:81], v[80:81], v[36:37]
	s_mov_b32 s1, 0x3fea55e2
	s_mov_b32 s15, 0xbfea55e2
	;; [unrolled: 1-line block ×7, first 2 shown]
	v_add_f64 v[74:75], v[80:81], v[28:29]
	v_mul_f64 v[80:81], v[78:79], s[16:17]
	v_mul_f64 v[78:79], v[78:79], s[46:47]
	s_mov_b32 s39, 0xbfe5384d
	s_mov_b32 s43, 0x3fcea1e5
	;; [unrolled: 1-line block ×5, first 2 shown]
	v_add_f64 v[74:75], v[74:75], v[30:31]
	s_mov_b32 s26, s20
	s_mov_b32 s34, s28
	;; [unrolled: 1-line block ×4, first 2 shown]
	v_mul_f64 v[109:110], v[70:71], s[18:19]
	v_fma_f64 v[115:116], v[76:77], s[8:9], v[80:81]
	v_fma_f64 v[80:81], v[76:77], s[22:23], v[80:81]
	v_add_f64 v[74:75], v[74:75], v[38:39]
	v_fma_f64 v[117:118], v[76:77], s[0:1], v[101:102]
	v_fma_f64 v[101:102], v[76:77], s[14:15], v[101:102]
	;; [unrolled: 1-line block ×7, first 2 shown]
	v_add_f64 v[74:75], v[74:75], v[40:41]
	v_fma_f64 v[107:108], v[76:77], s[38:39], v[107:108]
	v_fma_f64 v[125:126], v[76:77], s[42:43], v[78:79]
	;; [unrolled: 1-line block ×3, first 2 shown]
	v_mul_f64 v[111:112], v[70:71], s[30:31]
	v_mul_f64 v[113:114], v[70:71], s[46:47]
	v_fma_f64 v[78:79], v[68:69], s[0:1], v[109:110]
	v_add_f64 v[115:116], v[48:49], v[115:116]
	v_add_f64 v[74:75], v[74:75], v[42:43]
	;; [unrolled: 1-line block ×8, first 2 shown]
	v_fma_f64 v[127:128], v[68:69], s[28:29], v[111:112]
	v_add_f64 v[16:17], v[74:75], v[16:17]
	v_add_f64 v[74:75], v[48:49], v[103:104]
	;; [unrolled: 1-line block ×6, first 2 shown]
	v_mul_f64 v[76:77], v[70:71], s[40:41]
	v_fma_f64 v[111:112], v[68:69], s[34:35], v[111:112]
	v_add_f64 v[16:17], v[16:17], v[18:19]
	v_add_f64 v[18:19], v[78:79], v[115:116]
	v_fma_f64 v[78:79], v[68:69], s[42:43], v[113:114]
	v_fma_f64 v[113:114], v[68:69], s[44:45], v[113:114]
	v_mul_f64 v[115:116], v[70:71], s[24:25]
	v_add_f64 v[42:43], v[66:67], v[42:43]
	v_fma_f64 v[66:67], v[68:69], s[38:39], v[76:77]
	v_fma_f64 v[109:110], v[68:69], s[14:15], v[109:110]
	v_add_f64 v[101:102], v[111:112], v[101:102]
	v_fma_f64 v[76:77], v[68:69], s[36:37], v[76:77]
	v_mul_f64 v[70:71], v[70:71], s[16:17]
	v_add_f64 v[74:75], v[113:114], v[74:75]
	v_fma_f64 v[111:112], v[68:69], s[26:27], v[115:116]
	v_add_f64 v[14:15], v[64:65], -v[14:15]
	v_mul_f64 v[64:65], v[42:43], s[24:25]
	v_add_f64 v[66:67], v[66:67], v[103:104]
	v_fma_f64 v[103:104], v[68:69], s[20:21], v[115:116]
	v_mul_f64 v[113:114], v[42:43], s[46:47]
	v_add_f64 v[80:81], v[109:110], v[80:81]
	v_add_f64 v[109:110], v[127:128], v[117:118]
	;; [unrolled: 1-line block ×3, first 2 shown]
	v_fma_f64 v[105:106], v[68:69], s[22:23], v[70:71]
	v_fma_f64 v[68:69], v[68:69], s[8:9], v[70:71]
	v_add_f64 v[70:71], v[111:112], v[121:122]
	v_fma_f64 v[111:112], v[14:15], s[20:21], v[64:65]
	v_mul_f64 v[115:116], v[42:43], s[30:31]
	v_add_f64 v[103:104], v[103:104], v[107:108]
	v_fma_f64 v[64:65], v[14:15], s[26:27], v[64:65]
	v_fma_f64 v[107:108], v[14:15], s[42:43], v[113:114]
	v_add_f64 v[78:79], v[78:79], v[119:120]
	v_add_f64 v[48:49], v[68:69], v[48:49]
	v_fma_f64 v[68:69], v[14:15], s[44:45], v[113:114]
	v_add_f64 v[18:19], v[111:112], v[18:19]
	v_fma_f64 v[111:112], v[14:15], s[34:35], v[115:116]
	v_mul_f64 v[113:114], v[42:43], s[16:17]
	v_add_f64 v[64:65], v[64:65], v[80:81]
	v_fma_f64 v[80:81], v[14:15], s[28:29], v[115:116]
	v_add_f64 v[107:108], v[107:108], v[109:110]
	v_mul_f64 v[109:110], v[42:43], s[18:19]
	v_add_f64 v[40:41], v[62:63], v[40:41]
	v_add_f64 v[68:69], v[68:69], v[101:102]
	;; [unrolled: 1-line block ×3, first 2 shown]
	v_fma_f64 v[78:79], v[14:15], s[22:23], v[113:114]
	v_fma_f64 v[101:102], v[14:15], s[8:9], v[113:114]
	v_add_f64 v[74:75], v[80:81], v[74:75]
	v_mul_f64 v[42:43], v[42:43], s[40:41]
	v_fma_f64 v[80:81], v[14:15], s[0:1], v[109:110]
	v_add_f64 v[12:13], v[50:51], -v[12:13]
	v_mul_f64 v[50:51], v[40:41], s[30:31]
	v_fma_f64 v[109:110], v[14:15], s[14:15], v[109:110]
	v_add_f64 v[105:106], v[105:106], v[123:124]
	v_add_f64 v[66:67], v[78:79], v[66:67]
	;; [unrolled: 1-line block ×3, first 2 shown]
	v_mul_f64 v[78:79], v[40:41], s[40:41]
	v_fma_f64 v[101:102], v[14:15], s[36:37], v[42:43]
	v_fma_f64 v[14:15], v[14:15], s[38:39], v[42:43]
	v_add_f64 v[42:43], v[80:81], v[70:71]
	v_fma_f64 v[70:71], v[12:13], s[28:29], v[50:51]
	v_add_f64 v[80:81], v[109:110], v[103:104]
	v_mul_f64 v[103:104], v[40:41], s[16:17]
	v_add_f64 v[36:37], v[36:37], v[38:39]
	v_fma_f64 v[109:110], v[12:13], s[38:39], v[78:79]
	v_add_f64 v[101:102], v[101:102], v[105:106]
	v_add_f64 v[14:15], v[14:15], v[48:49]
	v_fma_f64 v[48:49], v[12:13], s[36:37], v[78:79]
	v_add_f64 v[18:19], v[70:71], v[18:19]
	v_mul_f64 v[70:71], v[40:41], s[24:25]
	v_fma_f64 v[78:79], v[12:13], s[22:23], v[103:104]
	v_fma_f64 v[103:104], v[12:13], s[8:9], v[103:104]
	v_mul_f64 v[105:106], v[40:41], s[46:47]
	v_mul_f64 v[40:41], v[40:41], s[18:19]
	v_add_f64 v[32:33], v[32:33], -v[34:35]
	v_add_f64 v[48:49], v[48:49], v[68:69]
	v_mul_f64 v[34:35], v[36:37], s[40:41]
	v_fma_f64 v[38:39], v[12:13], s[20:21], v[70:71]
	v_fma_f64 v[68:69], v[12:13], s[26:27], v[70:71]
	v_add_f64 v[70:71], v[103:104], v[74:75]
	v_fma_f64 v[74:75], v[12:13], s[44:45], v[105:106]
	v_fma_f64 v[50:51], v[12:13], s[34:35], v[50:51]
	v_add_f64 v[62:63], v[78:79], v[62:63]
	v_mul_f64 v[78:79], v[36:37], s[24:25]
	v_add_f64 v[28:29], v[28:29], v[30:31]
	v_add_f64 v[38:39], v[38:39], v[66:67]
	v_fma_f64 v[66:67], v[12:13], s[42:43], v[105:106]
	v_add_f64 v[68:69], v[68:69], v[76:77]
	v_fma_f64 v[76:77], v[12:13], s[14:15], v[40:41]
	v_fma_f64 v[12:13], v[12:13], s[0:1], v[40:41]
	v_add_f64 v[40:41], v[74:75], v[42:43]
	v_fma_f64 v[42:43], v[32:33], s[36:37], v[34:35]
	v_mul_f64 v[74:75], v[36:37], s[18:19]
	v_add_f64 v[50:51], v[50:51], v[64:65]
	v_fma_f64 v[34:35], v[32:33], s[38:39], v[34:35]
	v_add_f64 v[66:67], v[66:67], v[80:81]
	v_fma_f64 v[80:81], v[32:33], s[26:27], v[78:79]
	;; [unrolled: 2-line block ×4, first 2 shown]
	v_mul_f64 v[78:79], v[36:37], s[46:47]
	v_add_f64 v[34:35], v[34:35], v[50:51]
	v_fma_f64 v[50:51], v[32:33], s[14:15], v[74:75]
	v_mul_f64 v[74:75], v[36:37], s[16:17]
	v_mul_f64 v[36:37], v[36:37], s[30:31]
	v_add_f64 v[14:15], v[14:15], v[48:49]
	v_add_f64 v[20:21], v[20:21], -v[22:23]
	v_add_f64 v[30:31], v[42:43], v[62:63]
	v_fma_f64 v[42:43], v[32:33], s[44:45], v[78:79]
	v_mul_f64 v[22:23], v[28:29], s[46:47]
	v_add_f64 v[48:49], v[50:51], v[70:71]
	v_fma_f64 v[50:51], v[32:33], s[42:43], v[78:79]
	v_fma_f64 v[62:63], v[32:33], s[22:23], v[74:75]
	;; [unrolled: 1-line block ×3, first 2 shown]
	v_mul_f64 v[74:75], v[28:29], s[16:17]
	v_add_f64 v[64:65], v[109:110], v[107:108]
	v_add_f64 v[38:39], v[42:43], v[38:39]
	v_fma_f64 v[42:43], v[32:33], s[28:29], v[36:37]
	v_fma_f64 v[32:33], v[32:33], s[34:35], v[36:37]
	v_add_f64 v[36:37], v[50:51], v[68:69]
	v_fma_f64 v[50:51], v[20:21], s[42:43], v[22:23]
	v_fma_f64 v[22:23], v[20:21], s[44:45], v[22:23]
	v_mul_f64 v[68:69], v[28:29], s[40:41]
	v_add_f64 v[64:65], v[80:81], v[64:65]
	v_add_f64 v[40:41], v[62:63], v[40:41]
	;; [unrolled: 1-line block ×4, first 2 shown]
	v_fma_f64 v[32:33], v[20:21], s[8:9], v[74:75]
	v_fma_f64 v[66:67], v[20:21], s[22:23], v[74:75]
	v_add_f64 v[18:19], v[50:51], v[18:19]
	v_mul_f64 v[50:51], v[28:29], s[18:19]
	v_add_f64 v[22:23], v[22:23], v[34:35]
	v_mul_f64 v[34:35], v[28:29], s[30:31]
	;; [unrolled: 2-line block ×3, first 2 shown]
	v_add_f64 v[14:15], v[32:33], v[14:15]
	v_fma_f64 v[32:33], v[20:21], s[36:37], v[68:69]
	v_add_f64 v[64:65], v[66:67], v[64:65]
	v_fma_f64 v[66:67], v[20:21], s[38:39], v[68:69]
	v_fma_f64 v[68:69], v[20:21], s[14:15], v[50:51]
	;; [unrolled: 1-line block ×3, first 2 shown]
	v_add_f64 v[42:43], v[42:43], v[76:77]
	v_fma_f64 v[50:51], v[20:21], s[0:1], v[50:51]
	v_fma_f64 v[34:35], v[20:21], s[34:35], v[34:35]
	;; [unrolled: 1-line block ×4, first 2 shown]
	v_add_f64 v[28:29], v[32:33], v[30:31]
	v_add_f64 v[32:33], v[68:69], v[38:39]
	;; [unrolled: 1-line block ×8, first 2 shown]
	v_mul_u32_u24_e32 v20, 52, v100
	v_or_b32_e32 v20, v20, v96
	v_lshlrev_b32_e32 v20, 3, v20
	v_add3_u32 v20, 0, v20, v93
	ds_write2_b64 v20, v[16:17], v[18:19] offset1:4
	ds_write2_b64 v20, v[64:65], v[28:29] offset0:8 offset1:12
	ds_write2_b64 v20, v[32:33], v[38:39] offset0:16 offset1:20
	;; [unrolled: 1-line block ×5, first 2 shown]
	ds_write_b64 v20, v[22:23] offset:384
.LBB0_20:
	s_or_b64 exec, exec, s[6:7]
	v_subrev_u32_e32 v12, 52, v82
	v_cmp_gt_u32_e64 s[0:1], 52, v82
	v_cndmask_b32_e64 v12, v12, v82, s[0:1]
	v_mov_b32_e32 v13, 0
	v_lshlrev_b64 v[14:15], 4, v[12:13]
	v_mov_b32_e32 v96, s13
	v_add_co_u32_e64 v22, s[0:1], s12, v14
	v_addc_co_u32_e64 v23, s[0:1], v96, v15, s[0:1]
	s_movk_i32 s0, 0x4f
	v_mul_lo_u16_sdwa v14, v84, s0 dst_sel:DWORD dst_unused:UNUSED_PAD src0_sel:BYTE_0 src1_sel:DWORD
	v_lshrrev_b16_e32 v100, 12, v14
	v_mul_lo_u16_e32 v14, 52, v100
	v_mul_lo_u16_sdwa v110, v85, s0 dst_sel:DWORD dst_unused:UNUSED_PAD src0_sel:BYTE_0 src1_sel:DWORD
	s_movk_i32 s0, 0x4ec5
	v_sub_u16_e32 v101, v84, v14
	v_mov_b32_e32 v28, 4
	v_lshrrev_b16_e32 v111, 12, v110
	v_mul_u32_u24_sdwa v113, v89, s0 dst_sel:DWORD dst_unused:UNUSED_PAD src0_sel:WORD_0 src1_sel:DWORD
	s_waitcnt lgkmcnt(0)
	s_barrier
	v_lshlrev_b32_sdwa v29, v28, v101 dst_sel:DWORD dst_unused:UNUSED_PAD src0_sel:DWORD src1_sel:BYTE_0
	global_load_dwordx4 v[14:17], v[22:23], off offset:800
	global_load_dwordx4 v[18:21], v29, s[12:13] offset:800
	v_mul_lo_u16_e32 v22, 52, v111
	v_lshrrev_b32_e32 v114, 20, v113
	v_sub_u16_e32 v112, v85, v22
	v_mul_lo_u16_e32 v23, 52, v114
	v_lshlrev_b32_sdwa v22, v28, v112 dst_sel:DWORD dst_unused:UNUSED_PAD src0_sel:DWORD src1_sel:BYTE_0
	v_sub_u16_e32 v115, v89, v23
	v_lshlrev_b32_e32 v23, 4, v115
	global_load_dwordx4 v[28:31], v22, s[12:13] offset:800
	global_load_dwordx4 v[32:35], v23, s[12:13] offset:800
	v_mul_u32_u24_sdwa v22, v94, s0 dst_sel:DWORD dst_unused:UNUSED_PAD src0_sel:WORD_0 src1_sel:DWORD
	v_lshrrev_b32_e32 v116, 20, v22
	v_mul_u32_u24_sdwa v23, v95, s0 dst_sel:DWORD dst_unused:UNUSED_PAD src0_sel:WORD_0 src1_sel:DWORD
	v_mul_lo_u16_e32 v22, 52, v116
	v_lshrrev_b32_e32 v118, 20, v23
	v_sub_u16_e32 v117, v94, v22
	v_mul_lo_u16_e32 v23, 52, v118
	v_lshlrev_b32_e32 v22, 4, v117
	v_sub_u16_e32 v119, v95, v23
	global_load_dwordx4 v[36:39], v22, s[12:13] offset:800
	v_lshlrev_b32_e32 v22, 4, v119
	global_load_dwordx4 v[40:43], v22, s[12:13] offset:800
	v_mov_b32_e32 v94, 0x340
	v_cmp_lt_u32_e64 s[0:1], 51, v82
	v_cndmask_b32_e64 v94, 0, v94, s[0:1]
	v_add_u32_e32 v94, 0, v94
	v_lshlrev_b32_e32 v12, 3, v12
	ds_read2_b64 v[48:51], v97 offset0:84 offset1:162
	ds_read2_b64 v[62:65], v98 offset0:112 offset1:190
	ds_read_b64 v[22:23], v83
	ds_read_b64 v[70:71], v86
	;; [unrolled: 1-line block ×4, first 2 shown]
	ds_read2_b64 v[66:69], v99 offset0:12 offset1:90
	ds_read_b64 v[78:79], v91
	ds_read_b64 v[80:81], v92
	v_add3_u32 v12, v94, v12, v93
	s_movk_i32 s6, 0x340
	v_mov_b32_e32 v120, 3
	v_mad_u32_u24 v121, v100, s6, 0
	v_lshlrev_b32_sdwa v122, v120, v101 dst_sel:DWORD dst_unused:UNUSED_PAD src0_sel:DWORD src1_sel:BYTE_0
	s_waitcnt vmcnt(0) lgkmcnt(0)
	s_barrier
	s_mov_b32 s9, 0x3febb67a
	s_movk_i32 s14, 0x9c0
	v_mul_f64 v[94:95], v[48:49], v[16:17]
	v_mul_f64 v[100:101], v[50:51], v[20:21]
	;; [unrolled: 1-line block ×8, first 2 shown]
	v_fma_f64 v[0:1], v[0:1], v[14:15], v[94:95]
	v_fma_f64 v[2:3], v[2:3], v[18:19], v[100:101]
	v_fma_f64 v[14:15], v[48:49], v[14:15], -v[16:17]
	v_fma_f64 v[16:17], v[50:51], v[18:19], -v[20:21]
	v_fma_f64 v[4:5], v[4:5], v[28:29], v[102:103]
	v_fma_f64 v[6:7], v[6:7], v[32:33], v[104:105]
	v_fma_f64 v[18:19], v[62:63], v[28:29], -v[30:31]
	v_mul_f64 v[106:107], v[66:67], v[38:39]
	v_mul_f64 v[38:39], v[8:9], v[38:39]
	;; [unrolled: 1-line block ×4, first 2 shown]
	v_fma_f64 v[20:21], v[64:65], v[32:33], -v[34:35]
	v_add_f64 v[0:1], v[72:73], -v[0:1]
	v_add_f64 v[2:3], v[46:47], -v[2:3]
	;; [unrolled: 1-line block ×3, first 2 shown]
	v_fma_f64 v[8:9], v[8:9], v[36:37], v[106:107]
	v_fma_f64 v[28:29], v[66:67], v[36:37], -v[38:39]
	v_fma_f64 v[10:11], v[10:11], v[40:41], v[108:109]
	v_fma_f64 v[30:31], v[68:69], v[40:41], -v[42:43]
	v_add_f64 v[6:7], v[24:25], -v[6:7]
	v_add_f64 v[14:15], v[22:23], -v[14:15]
	;; [unrolled: 1-line block ×7, first 2 shown]
	v_fma_f64 v[32:33], v[72:73], 2.0, -v[0:1]
	v_add_f64 v[28:29], v[78:79], -v[28:29]
	v_add_f64 v[30:31], v[80:81], -v[30:31]
	v_fma_f64 v[34:35], v[46:47], 2.0, -v[2:3]
	v_fma_f64 v[26:27], v[26:27], 2.0, -v[4:5]
	;; [unrolled: 1-line block ×9, first 2 shown]
	ds_write2_b64 v12, v[32:33], v[0:1] offset1:52
	v_mad_u32_u24 v0, v111, s6, 0
	v_lshlrev_b32_sdwa v1, v120, v112 dst_sel:DWORD dst_unused:UNUSED_PAD src0_sel:DWORD src1_sel:BYTE_0
	v_fma_f64 v[46:47], v[78:79], 2.0, -v[28:29]
	v_add3_u32 v32, v121, v122, v93
	v_add3_u32 v33, v0, v1, v93
	v_mad_u32_u24 v0, v114, s6, 0
	v_lshlrev_b32_e32 v1, 3, v115
	v_fma_f64 v[48:49], v[80:81], 2.0, -v[30:31]
	ds_write2_b64 v32, v[34:35], v[2:3] offset1:52
	ds_write2_b64 v33, v[26:27], v[4:5] offset1:52
	v_add3_u32 v26, v0, v1, v93
	v_mad_u32_u24 v0, v116, s6, 0
	v_lshlrev_b32_e32 v1, 3, v117
	ds_write2_b64 v26, v[24:25], v[6:7] offset1:52
	v_add3_u32 v24, v0, v1, v93
	v_mad_u32_u24 v0, v118, s6, 0
	v_lshlrev_b32_e32 v1, 3, v119
	v_add3_u32 v25, v0, v1, v93
	v_mov_b32_e32 v60, v13
	ds_write2_b64 v24, v[42:43], v[8:9] offset1:52
	ds_write2_b64 v25, v[44:45], v[10:11] offset1:52
	s_waitcnt lgkmcnt(0)
	s_barrier
	ds_read2_b64 v[0:3], v98 offset0:112 offset1:190
	ds_read_b64 v[67:68], v91
	ds_read_b64 v[69:70], v92
	ds_read2_b64 v[4:7], v97 offset0:84 offset1:162
	ds_read2_b64 v[8:11], v99 offset0:12 offset1:90
	ds_read_b64 v[71:72], v83
	ds_read_b64 v[73:74], v86
	;; [unrolled: 1-line block ×4, first 2 shown]
	s_waitcnt lgkmcnt(0)
	s_barrier
	ds_write2_b64 v12, v[22:23], v[14:15] offset1:52
	ds_write2_b64 v32, v[36:37], v[16:17] offset1:52
	;; [unrolled: 1-line block ×6, first 2 shown]
	v_lshlrev_b64 v[14:15], 4, v[59:60]
	v_subrev_u32_e32 v12, 26, v82
	v_add_co_u32_e64 v14, s[0:1], s12, v14
	v_addc_co_u32_e64 v15, s[0:1], v96, v15, s[0:1]
	v_cmp_gt_u32_e64 s[0:1], 26, v82
	s_waitcnt lgkmcnt(0)
	s_barrier
	global_load_dwordx4 v[16:19], v[14:15], off offset:1648
	global_load_dwordx4 v[20:23], v[14:15], off offset:1632
	v_cndmask_b32_e64 v81, v12, v84, s[0:1]
	v_lshlrev_b32_e32 v12, 1, v81
	v_lshlrev_b64 v[24:25], 4, v[12:13]
	v_lshrrev_b16_e32 v12, 13, v110
	v_add_co_u32_e64 v32, s[0:1], s12, v24
	v_addc_co_u32_e64 v33, s[0:1], v96, v25, s[0:1]
	global_load_dwordx4 v[24:27], v[32:33], off offset:1648
	global_load_dwordx4 v[28:31], v[32:33], off offset:1632
	v_mul_lo_u16_e32 v32, 0x68, v12
	v_sub_u16_e32 v96, v85, v32
	v_mov_b32_e32 v32, 5
	v_lshlrev_b32_sdwa v40, v32, v96 dst_sel:DWORD dst_unused:UNUSED_PAD src0_sel:DWORD src1_sel:BYTE_0
	global_load_dwordx4 v[32:35], v40, s[12:13] offset:1632
	global_load_dwordx4 v[36:39], v40, s[12:13] offset:1648
	v_lshrrev_b32_e32 v40, 21, v113
	v_mul_lo_u16_e32 v40, 0x68, v40
	v_sub_u16_e32 v89, v89, v40
	v_lshlrev_b32_e32 v48, 5, v89
	global_load_dwordx4 v[40:43], v48, s[12:13] offset:1632
	global_load_dwordx4 v[44:47], v48, s[12:13] offset:1648
	ds_read_b64 v[79:80], v91
	ds_read2_b64 v[48:51], v98 offset0:112 offset1:190
	ds_read_b64 v[84:85], v92
	ds_read2_b64 v[59:62], v97 offset0:84 offset1:162
	ds_read2_b64 v[63:66], v99 offset0:12 offset1:90
	ds_read_b64 v[102:103], v83
	ds_read_b64 v[104:105], v86
	;; [unrolled: 1-line block ×4, first 2 shown]
	s_mov_b32 s6, 0xe8584caa
	s_mov_b32 s7, 0xbfebb67a
	s_mov_b32 s8, s6
	v_cmp_lt_u32_e64 s[0:1], 25, v82
	s_waitcnt vmcnt(0) lgkmcnt(0)
	s_barrier
	v_mul_f64 v[100:101], v[48:49], v[18:19]
	v_mul_f64 v[94:95], v[79:80], v[22:23]
	;; [unrolled: 1-line block ×4, first 2 shown]
	v_fma_f64 v[0:1], v[0:1], v[16:17], v[100:101]
	v_fma_f64 v[67:68], v[67:68], v[20:21], v[94:95]
	v_fma_f64 v[20:21], v[79:80], v[20:21], -v[22:23]
	v_mul_f64 v[22:23], v[84:85], v[30:31]
	v_mul_f64 v[30:31], v[69:70], v[30:31]
	;; [unrolled: 1-line block ×5, first 2 shown]
	v_fma_f64 v[16:17], v[48:49], v[16:17], -v[18:19]
	v_mul_f64 v[18:19], v[4:5], v[34:35]
	v_fma_f64 v[22:23], v[69:70], v[28:29], v[22:23]
	v_fma_f64 v[28:29], v[84:85], v[28:29], -v[30:31]
	v_fma_f64 v[2:3], v[2:3], v[24:25], v[79:80]
	v_mul_f64 v[30:31], v[63:64], v[38:39]
	v_fma_f64 v[24:25], v[50:51], v[24:25], -v[26:27]
	v_fma_f64 v[4:5], v[4:5], v[32:33], v[94:95]
	v_mul_f64 v[26:27], v[8:9], v[38:39]
	v_fma_f64 v[18:19], v[59:60], v[32:33], -v[18:19]
	v_mul_f64 v[32:33], v[61:62], v[42:43]
	v_mul_f64 v[34:35], v[6:7], v[42:43]
	v_add_f64 v[38:39], v[67:68], v[0:1]
	v_fma_f64 v[8:9], v[8:9], v[36:37], v[30:31]
	v_mul_f64 v[30:31], v[65:66], v[46:47]
	v_mul_f64 v[42:43], v[10:11], v[46:47]
	v_fma_f64 v[26:27], v[63:64], v[36:37], -v[26:27]
	v_add_f64 v[36:37], v[71:72], v[67:68]
	v_fma_f64 v[6:7], v[6:7], v[40:41], v[32:33]
	v_fma_f64 v[32:33], v[61:62], v[40:41], -v[34:35]
	v_fma_f64 v[34:35], v[38:39], -0.5, v[71:72]
	v_add_f64 v[38:39], v[20:21], -v[16:17]
	v_add_f64 v[40:41], v[20:21], v[16:17]
	v_add_f64 v[20:21], v[102:103], v[20:21]
	v_fma_f64 v[10:11], v[10:11], v[44:45], v[30:31]
	v_fma_f64 v[30:31], v[65:66], v[44:45], -v[42:43]
	v_add_f64 v[36:37], v[36:37], v[0:1]
	v_add_f64 v[44:45], v[22:23], v[2:3]
	v_add_f64 v[0:1], v[67:68], -v[0:1]
	v_fma_f64 v[42:43], v[38:39], s[6:7], v[34:35]
	v_fma_f64 v[40:41], v[40:41], -0.5, v[102:103]
	v_fma_f64 v[34:35], v[38:39], s[8:9], v[34:35]
	v_add_f64 v[38:39], v[20:21], v[16:17]
	v_add_f64 v[16:17], v[28:29], v[24:25]
	;; [unrolled: 1-line block ×4, first 2 shown]
	v_fma_f64 v[44:45], v[44:45], -0.5, v[73:74]
	v_add_f64 v[46:47], v[28:29], -v[24:25]
	v_fma_f64 v[48:49], v[0:1], s[8:9], v[40:41]
	v_fma_f64 v[40:41], v[0:1], s[6:7], v[40:41]
	v_add_f64 v[0:1], v[104:105], v[28:29]
	v_fma_f64 v[16:17], v[16:17], -0.5, v[104:105]
	v_add_f64 v[22:23], v[22:23], -v[2:3]
	v_add_f64 v[28:29], v[75:76], v[4:5]
	v_fma_f64 v[50:51], v[50:51], -0.5, v[75:76]
	v_add_f64 v[59:60], v[18:19], -v[26:27]
	v_add_f64 v[2:3], v[20:21], v[2:3]
	v_fma_f64 v[20:21], v[46:47], s[6:7], v[44:45]
	v_fma_f64 v[44:45], v[46:47], s[8:9], v[44:45]
	v_add_f64 v[46:47], v[0:1], v[24:25]
	v_fma_f64 v[61:62], v[22:23], s[8:9], v[16:17]
	v_add_f64 v[0:1], v[18:19], v[26:27]
	;; [unrolled: 2-line block ×3, first 2 shown]
	v_add_f64 v[22:23], v[6:7], v[10:11]
	v_fma_f64 v[24:25], v[59:60], s[6:7], v[50:51]
	v_fma_f64 v[28:29], v[59:60], s[8:9], v[50:51]
	v_add_f64 v[50:51], v[32:33], v[30:31]
	v_add_f64 v[4:5], v[4:5], -v[8:9]
	v_fma_f64 v[0:1], v[0:1], -0.5, v[106:107]
	v_add_f64 v[8:9], v[77:78], v[6:7]
	v_add_f64 v[59:60], v[32:33], -v[30:31]
	v_fma_f64 v[22:23], v[22:23], -0.5, v[77:78]
	;; [unrolled: 3-line block ×3, first 2 shown]
	v_add_f64 v[18:19], v[106:107], v[18:19]
	v_fma_f64 v[67:68], v[4:5], s[8:9], v[0:1]
	v_fma_f64 v[69:70], v[4:5], s[6:7], v[0:1]
	v_add_f64 v[0:1], v[8:9], v[10:11]
	v_fma_f64 v[4:5], v[59:60], s[6:7], v[22:23]
	v_add_f64 v[30:31], v[32:33], v[30:31]
	v_fma_f64 v[8:9], v[59:60], s[8:9], v[22:23]
	v_fma_f64 v[32:33], v[6:7], s[8:9], v[50:51]
	;; [unrolled: 1-line block ×3, first 2 shown]
	v_mov_b32_e32 v6, 0x9c0
	v_cndmask_b32_e64 v6, 0, v6, s[0:1]
	v_add_u32_e32 v6, 0, v6
	v_lshlrev_b32_e32 v7, 3, v81
	ds_write2_b64 v90, v[36:37], v[42:43] offset1:104
	ds_write_b64 v90, v[34:35] offset:1664
	v_add3_u32 v34, v6, v7, v93
	ds_write2_b64 v34, v[2:3], v[20:21] offset1:104
	ds_write_b64 v34, v[44:45] offset:1664
	v_mad_u32_u24 v2, v12, s14, 0
	v_lshlrev_b32_sdwa v3, v120, v96 dst_sel:DWORD dst_unused:UNUSED_PAD src0_sel:DWORD src1_sel:BYTE_0
	v_add3_u32 v12, v2, v3, v93
	v_lshlrev_b32_e32 v2, 3, v89
	ds_write2_b64 v12, v[16:17], v[24:25] offset1:104
	ds_write_b64 v12, v[28:29] offset:1664
	v_add3_u32 v28, 0, v2, v93
	v_add_u32_e32 v29, 0x1000, v28
	v_add_f64 v[65:66], v[18:19], v[26:27]
	ds_write2_b64 v29, v[0:1], v[4:5] offset0:112 offset1:216
	ds_write_b64 v28, v[8:9] offset:6656
	s_waitcnt lgkmcnt(0)
	s_barrier
	ds_read2_b64 v[0:3], v98 offset0:112 offset1:190
	ds_read_b64 v[18:19], v91
	ds_read_b64 v[24:25], v92
	ds_read2_b64 v[4:7], v97 offset0:84 offset1:162
	ds_read2_b64 v[8:11], v99 offset0:12 offset1:90
	ds_read_b64 v[16:17], v83
	ds_read_b64 v[20:21], v86
	;; [unrolled: 1-line block ×4, first 2 shown]
	s_waitcnt lgkmcnt(0)
	s_barrier
	ds_write2_b64 v90, v[38:39], v[48:49] offset1:104
	ds_write_b64 v90, v[40:41] offset:1664
	ds_write2_b64 v34, v[46:47], v[61:62] offset1:104
	ds_write_b64 v34, v[63:64] offset:1664
	;; [unrolled: 2-line block ×3, first 2 shown]
	ds_write2_b64 v29, v[30:31], v[32:33] offset0:112 offset1:216
	ds_write_b64 v28, v[50:51] offset:6656
	s_waitcnt lgkmcnt(0)
	s_barrier
	s_and_saveexec_b64 s[0:1], vcc
	s_cbranch_execz .LBB0_22
; %bb.21:
	v_mov_b32_e32 v59, v13
	v_lshlrev_b64 v[28:29], 4, v[58:59]
	v_mov_b32_e32 v40, s13
	v_add_co_u32_e32 v12, vcc, s12, v28
	v_addc_co_u32_e32 v28, vcc, v40, v29, vcc
	s_movk_i32 s0, 0x1360
	v_add_co_u32_e32 v59, vcc, s0, v12
	v_addc_co_u32_e32 v60, vcc, 0, v28, vcc
	s_movk_i32 s1, 0x1000
	v_add_co_u32_e32 v61, vcc, s1, v12
	v_mov_b32_e32 v58, v13
	v_addc_co_u32_e32 v62, vcc, 0, v28, vcc
	v_lshlrev_b64 v[28:29], 4, v[57:58]
	v_mov_b32_e32 v57, v13
	v_add_co_u32_e32 v12, vcc, s12, v28
	v_addc_co_u32_e32 v28, vcc, v40, v29, vcc
	v_add_co_u32_e32 v36, vcc, s0, v12
	v_addc_co_u32_e32 v37, vcc, 0, v28, vcc
	v_add_co_u32_e32 v38, vcc, s1, v12
	v_lshlrev_b64 v[12:13], 4, v[56:57]
	v_addc_co_u32_e32 v39, vcc, 0, v28, vcc
	global_load_dwordx4 v[28:31], v[38:39], off offset:864
	global_load_dwordx4 v[32:35], v[36:37], off offset:16
	v_add_co_u32_e32 v36, vcc, s12, v12
	v_addc_co_u32_e32 v37, vcc, v40, v13, vcc
	v_add_co_u32_e32 v12, vcc, s0, v36
	v_addc_co_u32_e32 v13, vcc, 0, v37, vcc
	;; [unrolled: 2-line block ×3, first 2 shown]
	global_load_dwordx4 v[36:39], v[56:57], off offset:864
	global_load_dwordx4 v[40:43], v[12:13], off offset:16
	;; [unrolled: 1-line block ×4, first 2 shown]
	v_add_co_u32_e32 v60, vcc, s0, v14
	v_addc_co_u32_e32 v61, vcc, 0, v15, vcc
	v_add_co_u32_e32 v62, vcc, s1, v14
	v_addc_co_u32_e32 v63, vcc, 0, v15, vcc
	global_load_dwordx4 v[12:15], v[62:63], off offset:864
	global_load_dwordx4 v[56:59], v[60:61], off offset:16
	v_add_u32_e32 v60, 0xc00, v90
	v_add_u32_e32 v64, 0x1800, v90
	;; [unrolled: 1-line block ×3, first 2 shown]
	v_mul_lo_u32 v76, s5, v54
	v_mul_lo_u32 v77, s4, v55
	v_mad_u64_u32 v[54:55], s[0:1], s4, v54, 0
	ds_read_b64 v[72:73], v92
	ds_read_b64 v[74:75], v91
	ds_read2_b64 v[60:63], v60 offset0:84 offset1:162
	ds_read2_b64 v[64:67], v64 offset0:12 offset1:90
	;; [unrolled: 1-line block ×3, first 2 shown]
	s_mov_b32 s0, 0x1a41a41b
	v_add3_u32 v55, v55, v77, v76
	s_waitcnt vmcnt(7)
	v_mul_f64 v[76:77], v[4:5], v[30:31]
	s_waitcnt vmcnt(6)
	v_mul_f64 v[78:79], v[8:9], v[34:35]
	s_waitcnt lgkmcnt(2)
	v_mul_f64 v[30:31], v[60:61], v[30:31]
	s_waitcnt lgkmcnt(1)
	v_mul_f64 v[34:35], v[64:65], v[34:35]
	v_fma_f64 v[60:61], v[60:61], v[28:29], -v[76:77]
	v_fma_f64 v[64:65], v[64:65], v[32:33], -v[78:79]
	v_fma_f64 v[76:77], v[4:5], v[28:29], v[30:31]
	v_fma_f64 v[34:35], v[8:9], v[32:33], v[34:35]
	s_waitcnt vmcnt(5)
	v_mul_f64 v[80:81], v[24:25], v[38:39]
	s_waitcnt vmcnt(3)
	v_mul_f64 v[89:90], v[6:7], v[46:47]
	;; [unrolled: 2-line block ×3, first 2 shown]
	v_mul_f64 v[46:47], v[62:63], v[46:47]
	v_mul_f64 v[50:51], v[66:67], v[50:51]
	v_add_f64 v[32:33], v[60:61], v[64:65]
	ds_read_b64 v[28:29], v88
	ds_read_b64 v[30:31], v87
	v_mul_f64 v[84:85], v[2:3], v[42:43]
	v_add_f64 v[78:79], v[76:77], v[34:35]
	v_fma_f64 v[4:5], v[62:63], v[44:45], -v[89:90]
	v_fma_f64 v[8:9], v[66:67], v[48:49], -v[91:92]
	v_fma_f64 v[6:7], v[6:7], v[44:45], v[46:47]
	v_fma_f64 v[10:11], v[10:11], v[48:49], v[50:51]
	v_fma_f64 v[62:63], v[72:73], v[36:37], -v[80:81]
	s_waitcnt lgkmcnt(0)
	v_add_f64 v[50:51], v[30:31], v[60:61]
	v_fma_f64 v[90:91], v[32:33], -0.5, v[30:31]
	v_add_f64 v[44:45], v[76:77], -v[34:35]
	ds_read_b64 v[48:49], v86
	v_add_f64 v[46:47], v[4:5], v[8:9]
	v_add_f64 v[86:87], v[28:29], v[4:5]
	;; [unrolled: 1-line block ×3, first 2 shown]
	v_add_f64 v[80:81], v[6:7], -v[10:11]
	v_add_f64 v[88:89], v[26:27], v[6:7]
	v_fma_f64 v[78:79], v[78:79], -0.5, v[22:23]
	v_add_f64 v[22:23], v[22:23], v[76:77]
	v_add_f64 v[60:61], v[60:61], -v[64:65]
	v_fma_f64 v[30:31], v[46:47], -0.5, v[28:29]
	v_add_f64 v[46:47], v[4:5], -v[8:9]
	v_fma_f64 v[66:67], v[66:67], -0.5, v[26:27]
	v_add_f64 v[6:7], v[86:87], v[8:9]
	v_add_f64 v[4:5], v[88:89], v[10:11]
	v_fma_f64 v[10:11], v[44:45], s[6:7], v[90:91]
	v_fma_f64 v[8:9], v[60:61], s[8:9], v[78:79]
	v_fma_f64 v[28:29], v[80:81], s[6:7], v[30:31]
	v_fma_f64 v[32:33], v[80:81], s[8:9], v[30:31]
	v_fma_f64 v[26:27], v[46:47], s[8:9], v[66:67]
	v_fma_f64 v[30:31], v[46:47], s[6:7], v[66:67]
	v_mul_f64 v[46:47], v[72:73], v[38:39]
	v_mul_f64 v[66:67], v[70:71], v[42:43]
	v_fma_f64 v[70:71], v[70:71], v[40:41], -v[84:85]
	s_waitcnt vmcnt(1)
	v_mul_f64 v[72:73], v[18:19], v[14:15]
	s_waitcnt vmcnt(0)
	v_mul_f64 v[80:81], v[0:1], v[58:59]
	v_fma_f64 v[38:39], v[44:45], s[8:9], v[90:91]
	v_add_f64 v[42:43], v[50:51], v[64:65]
	v_mul_f64 v[14:15], v[74:75], v[14:15]
	v_fma_f64 v[24:25], v[24:25], v[36:37], v[46:47]
	v_fma_f64 v[44:45], v[2:3], v[40:41], v[66:67]
	v_add_f64 v[2:3], v[62:63], v[70:71]
	v_fma_f64 v[46:47], v[74:75], v[12:13], -v[72:73]
	v_fma_f64 v[50:51], v[68:69], v[56:57], -v[80:81]
	v_mul_f64 v[40:41], v[68:69], v[58:59]
	v_fma_f64 v[36:37], v[60:61], s[6:7], v[78:79]
	v_fma_f64 v[66:67], v[18:19], v[12:13], v[14:15]
	s_waitcnt lgkmcnt(0)
	v_add_f64 v[12:13], v[48:49], v[62:63]
	v_add_f64 v[58:59], v[24:25], v[44:45]
	v_fma_f64 v[64:65], v[2:3], -0.5, v[48:49]
	v_add_f64 v[18:19], v[62:63], -v[70:71]
	v_add_f64 v[2:3], v[46:47], v[50:51]
	v_fma_f64 v[56:57], v[0:1], v[56:57], v[40:41]
	v_add_f64 v[0:1], v[24:25], -v[44:45]
	v_add_f64 v[40:41], v[22:23], v[34:35]
	v_add_f64 v[22:23], v[20:21], v[24:25]
	v_fma_f64 v[48:49], v[58:59], -0.5, v[20:21]
	ds_read_b64 v[60:61], v83
	v_add_f64 v[20:21], v[12:13], v[70:71]
	v_add_f64 v[58:59], v[66:67], -v[56:57]
	v_fma_f64 v[14:15], v[0:1], s[8:9], v[64:65]
	s_waitcnt lgkmcnt(0)
	v_fma_f64 v[34:35], v[2:3], -0.5, v[60:61]
	v_fma_f64 v[2:3], v[0:1], s[6:7], v[64:65]
	v_fma_f64 v[0:1], v[18:19], s[8:9], v[48:49]
	;; [unrolled: 1-line block ×3, first 2 shown]
	v_add_f64 v[48:49], v[66:67], v[56:57]
	v_add_f64 v[18:19], v[22:23], v[44:45]
	v_lshrrev_b32_e32 v22, 3, v82
	v_mul_hi_u32 v62, v22, s0
	v_add_f64 v[22:23], v[60:61], v[46:47]
	v_add_f64 v[44:45], v[46:47], -v[50:51]
	v_fma_f64 v[24:25], v[58:59], s[6:7], v[34:35]
	v_lshrrev_b32_e32 v46, 2, v62
	v_mul_u32_u24_e32 v46, 0x138, v46
	v_fma_f64 v[48:49], v[48:49], -0.5, v[16:17]
	v_sub_u32_e32 v62, v82, v46
	v_add_f64 v[16:17], v[16:17], v[66:67]
	v_mad_u64_u32 v[60:61], s[4:5], s2, v62, 0
	v_add_f64 v[50:51], v[22:23], v[50:51]
	v_fma_f64 v[46:47], v[58:59], s[8:9], v[34:35]
	v_mov_b32_e32 v22, v61
	v_mad_u64_u32 v[34:35], s[4:5], s3, v62, v[22:23]
	v_fma_f64 v[22:23], v[44:45], s[8:9], v[48:49]
	v_fma_f64 v[44:45], v[44:45], s[6:7], v[48:49]
	v_add_f64 v[48:49], v[16:17], v[56:57]
	v_lshlrev_b64 v[16:17], 4, v[54:55]
	v_mov_b32_e32 v61, v34
	v_mov_b32_e32 v34, s11
	v_add_co_u32_e32 v54, vcc, s10, v16
	v_addc_co_u32_e32 v55, vcc, v34, v17, vcc
	v_lshlrev_b64 v[16:17], 4, v[52:53]
	v_add_u32_e32 v52, 0x138, v62
	v_mad_u64_u32 v[34:35], s[4:5], s2, v52, 0
	v_add_co_u32_e32 v54, vcc, v54, v16
	v_addc_co_u32_e32 v55, vcc, v55, v17, vcc
	v_lshlrev_b64 v[16:17], 4, v[60:61]
	v_mad_u64_u32 v[52:53], s[4:5], s3, v52, v[35:36]
	v_add_co_u32_e32 v16, vcc, v54, v16
	v_addc_co_u32_e32 v17, vcc, v55, v17, vcc
	global_store_dwordx4 v[16:17], v[48:51], off
	v_mov_b32_e32 v35, v52
	v_add_u32_e32 v48, 0x270, v62
	v_lshlrev_b64 v[16:17], 4, v[34:35]
	v_mad_u64_u32 v[34:35], s[4:5], s2, v48, 0
	v_add_co_u32_e32 v16, vcc, v54, v16
	v_mad_u64_u32 v[48:49], s[4:5], s3, v48, v[35:36]
	v_add_u32_e32 v49, 0x4e, v82
	v_lshrrev_b32_e32 v35, 3, v49
	v_mul_hi_u32 v50, v35, s0
	v_addc_co_u32_e32 v17, vcc, v55, v17, vcc
	v_mov_b32_e32 v35, v48
	global_store_dwordx4 v[16:17], v[44:47], off
	v_lshlrev_b64 v[16:17], 4, v[34:35]
	v_lshrrev_b32_e32 v34, 2, v50
	v_mul_u32_u24_e32 v35, 0x138, v34
	v_sub_u32_e32 v35, v49, v35
	s_movk_i32 s6, 0x3a8
	v_mad_u32_u24 v47, v34, s6, v35
	v_mad_u64_u32 v[34:35], s[4:5], s2, v47, 0
	v_add_co_u32_e32 v16, vcc, v54, v16
	v_mad_u64_u32 v[44:45], s[4:5], s3, v47, v[35:36]
	v_addc_co_u32_e32 v17, vcc, v55, v17, vcc
	v_mov_b32_e32 v35, v44
	global_store_dwordx4 v[16:17], v[22:25], off
	v_lshlrev_b64 v[16:17], 4, v[34:35]
	v_add_u32_e32 v48, 0x138, v47
	v_mad_u64_u32 v[45:46], s[4:5], s2, v48, 0
	v_add_co_u32_e32 v16, vcc, v54, v16
	v_addc_co_u32_e32 v17, vcc, v55, v17, vcc
	global_store_dwordx4 v[16:17], v[18:21], off
	v_mov_b32_e32 v22, v46
	v_add_u32_e32 v20, 0x270, v47
	v_mad_u64_u32 v[18:19], s[4:5], s2, v20, 0
	v_mad_u64_u32 v[22:23], s[4:5], s3, v48, v[22:23]
	;; [unrolled: 1-line block ×3, first 2 shown]
	v_add_u32_e32 v20, 0x9c, v82
	v_mov_b32_e32 v46, v22
	v_lshrrev_b32_e32 v21, 3, v20
	v_lshlrev_b64 v[16:17], 4, v[45:46]
	v_mul_hi_u32 v21, v21, s0
	v_add_co_u32_e32 v16, vcc, v54, v16
	v_addc_co_u32_e32 v17, vcc, v55, v17, vcc
	global_store_dwordx4 v[16:17], v[12:15], off
	s_nop 0
	v_lshrrev_b32_e32 v14, 2, v21
	v_mul_u32_u24_e32 v15, 0x138, v14
	v_sub_u32_e32 v15, v20, v15
	v_lshlrev_b64 v[12:13], 4, v[18:19]
	v_mad_u32_u24 v18, v14, s6, v15
	v_mad_u64_u32 v[14:15], s[4:5], s2, v18, 0
	v_add_u32_e32 v19, 0x138, v18
	v_add_co_u32_e32 v12, vcc, v54, v12
	v_mad_u64_u32 v[15:16], s[4:5], s3, v18, v[15:16]
	v_mad_u64_u32 v[16:17], s[4:5], s2, v19, 0
	v_addc_co_u32_e32 v13, vcc, v55, v13, vcc
	global_store_dwordx4 v[12:13], v[0:3], off
	v_add_u32_e32 v12, 0x270, v18
	v_mov_b32_e32 v2, v17
	v_mad_u64_u32 v[2:3], s[4:5], s3, v19, v[2:3]
	v_lshlrev_b64 v[0:1], 4, v[14:15]
	v_add_u32_e32 v14, 0xea, v82
	v_lshrrev_b32_e32 v13, 3, v14
	v_mov_b32_e32 v17, v2
	v_mad_u64_u32 v[2:3], s[4:5], s2, v12, 0
	v_mul_hi_u32 v15, v13, s0
	v_add_co_u32_e32 v0, vcc, v54, v0
	v_mad_u64_u32 v[12:13], s[0:1], s3, v12, v[3:4]
	v_lshrrev_b32_e32 v3, 2, v15
	v_mul_u32_u24_e32 v13, 0x138, v3
	v_sub_u32_e32 v13, v14, v13
	v_addc_co_u32_e32 v1, vcc, v55, v1, vcc
	v_mad_u32_u24 v15, v3, s6, v13
	global_store_dwordx4 v[0:1], v[40:43], off
	v_lshlrev_b64 v[0:1], 4, v[16:17]
	v_mad_u64_u32 v[13:14], s[0:1], s2, v15, 0
	v_add_co_u32_e32 v0, vcc, v54, v0
	v_addc_co_u32_e32 v1, vcc, v55, v1, vcc
	v_mov_b32_e32 v3, v12
	global_store_dwordx4 v[0:1], v[36:39], off
	v_lshlrev_b64 v[0:1], 4, v[2:3]
	v_mov_b32_e32 v2, v14
	v_mad_u64_u32 v[2:3], s[0:1], s3, v15, v[2:3]
	v_add_co_u32_e32 v0, vcc, v54, v0
	v_addc_co_u32_e32 v1, vcc, v55, v1, vcc
	global_store_dwordx4 v[0:1], v[8:11], off
	v_mov_b32_e32 v14, v2
	v_add_u32_e32 v8, 0x138, v15
	v_mad_u64_u32 v[2:3], s[0:1], s2, v8, 0
	v_add_u32_e32 v11, 0x270, v15
	v_lshlrev_b64 v[0:1], 4, v[13:14]
	v_mad_u64_u32 v[8:9], s[0:1], s3, v8, v[3:4]
	v_mad_u64_u32 v[9:10], s[0:1], s2, v11, 0
	v_add_co_u32_e32 v0, vcc, v54, v0
	v_addc_co_u32_e32 v1, vcc, v55, v1, vcc
	v_mov_b32_e32 v3, v8
	global_store_dwordx4 v[0:1], v[4:7], off
	v_lshlrev_b64 v[0:1], 4, v[2:3]
	v_mov_b32_e32 v2, v10
	v_mad_u64_u32 v[2:3], s[0:1], s3, v11, v[2:3]
	v_add_co_u32_e32 v0, vcc, v54, v0
	v_addc_co_u32_e32 v1, vcc, v55, v1, vcc
	v_mov_b32_e32 v10, v2
	global_store_dwordx4 v[0:1], v[30:33], off
	v_lshlrev_b64 v[0:1], 4, v[9:10]
	v_add_co_u32_e32 v0, vcc, v54, v0
	v_addc_co_u32_e32 v1, vcc, v55, v1, vcc
	global_store_dwordx4 v[0:1], v[26:29], off
.LBB0_22:
	s_endpgm
	.section	.rodata,"a",@progbits
	.p2align	6, 0x0
	.amdhsa_kernel fft_rtc_back_len936_factors_2_2_13_2_3_3_wgs_234_tpt_78_halfLds_dp_op_CI_CI_sbrr_dirReg
		.amdhsa_group_segment_fixed_size 0
		.amdhsa_private_segment_fixed_size 0
		.amdhsa_kernarg_size 104
		.amdhsa_user_sgpr_count 6
		.amdhsa_user_sgpr_private_segment_buffer 1
		.amdhsa_user_sgpr_dispatch_ptr 0
		.amdhsa_user_sgpr_queue_ptr 0
		.amdhsa_user_sgpr_kernarg_segment_ptr 1
		.amdhsa_user_sgpr_dispatch_id 0
		.amdhsa_user_sgpr_flat_scratch_init 0
		.amdhsa_user_sgpr_private_segment_size 0
		.amdhsa_uses_dynamic_stack 0
		.amdhsa_system_sgpr_private_segment_wavefront_offset 0
		.amdhsa_system_sgpr_workgroup_id_x 1
		.amdhsa_system_sgpr_workgroup_id_y 0
		.amdhsa_system_sgpr_workgroup_id_z 0
		.amdhsa_system_sgpr_workgroup_info 0
		.amdhsa_system_vgpr_workitem_id 0
		.amdhsa_next_free_vgpr 153
		.amdhsa_next_free_sgpr 48
		.amdhsa_reserve_vcc 1
		.amdhsa_reserve_flat_scratch 0
		.amdhsa_float_round_mode_32 0
		.amdhsa_float_round_mode_16_64 0
		.amdhsa_float_denorm_mode_32 3
		.amdhsa_float_denorm_mode_16_64 3
		.amdhsa_dx10_clamp 1
		.amdhsa_ieee_mode 1
		.amdhsa_fp16_overflow 0
		.amdhsa_exception_fp_ieee_invalid_op 0
		.amdhsa_exception_fp_denorm_src 0
		.amdhsa_exception_fp_ieee_div_zero 0
		.amdhsa_exception_fp_ieee_overflow 0
		.amdhsa_exception_fp_ieee_underflow 0
		.amdhsa_exception_fp_ieee_inexact 0
		.amdhsa_exception_int_div_zero 0
	.end_amdhsa_kernel
	.text
.Lfunc_end0:
	.size	fft_rtc_back_len936_factors_2_2_13_2_3_3_wgs_234_tpt_78_halfLds_dp_op_CI_CI_sbrr_dirReg, .Lfunc_end0-fft_rtc_back_len936_factors_2_2_13_2_3_3_wgs_234_tpt_78_halfLds_dp_op_CI_CI_sbrr_dirReg
                                        ; -- End function
	.section	.AMDGPU.csdata,"",@progbits
; Kernel info:
; codeLenInByte = 12496
; NumSgprs: 52
; NumVgprs: 153
; ScratchSize: 0
; MemoryBound: 1
; FloatMode: 240
; IeeeMode: 1
; LDSByteSize: 0 bytes/workgroup (compile time only)
; SGPRBlocks: 6
; VGPRBlocks: 38
; NumSGPRsForWavesPerEU: 52
; NumVGPRsForWavesPerEU: 153
; Occupancy: 1
; WaveLimiterHint : 1
; COMPUTE_PGM_RSRC2:SCRATCH_EN: 0
; COMPUTE_PGM_RSRC2:USER_SGPR: 6
; COMPUTE_PGM_RSRC2:TRAP_HANDLER: 0
; COMPUTE_PGM_RSRC2:TGID_X_EN: 1
; COMPUTE_PGM_RSRC2:TGID_Y_EN: 0
; COMPUTE_PGM_RSRC2:TGID_Z_EN: 0
; COMPUTE_PGM_RSRC2:TIDIG_COMP_CNT: 0
	.type	__hip_cuid_566c625120052233,@object ; @__hip_cuid_566c625120052233
	.section	.bss,"aw",@nobits
	.globl	__hip_cuid_566c625120052233
__hip_cuid_566c625120052233:
	.byte	0                               ; 0x0
	.size	__hip_cuid_566c625120052233, 1

	.ident	"AMD clang version 19.0.0git (https://github.com/RadeonOpenCompute/llvm-project roc-6.4.0 25133 c7fe45cf4b819c5991fe208aaa96edf142730f1d)"
	.section	".note.GNU-stack","",@progbits
	.addrsig
	.addrsig_sym __hip_cuid_566c625120052233
	.amdgpu_metadata
---
amdhsa.kernels:
  - .args:
      - .actual_access:  read_only
        .address_space:  global
        .offset:         0
        .size:           8
        .value_kind:     global_buffer
      - .offset:         8
        .size:           8
        .value_kind:     by_value
      - .actual_access:  read_only
        .address_space:  global
        .offset:         16
        .size:           8
        .value_kind:     global_buffer
      - .actual_access:  read_only
        .address_space:  global
        .offset:         24
        .size:           8
        .value_kind:     global_buffer
      - .actual_access:  read_only
        .address_space:  global
        .offset:         32
        .size:           8
        .value_kind:     global_buffer
      - .offset:         40
        .size:           8
        .value_kind:     by_value
      - .actual_access:  read_only
        .address_space:  global
        .offset:         48
        .size:           8
        .value_kind:     global_buffer
      - .actual_access:  read_only
        .address_space:  global
        .offset:         56
        .size:           8
        .value_kind:     global_buffer
      - .offset:         64
        .size:           4
        .value_kind:     by_value
      - .actual_access:  read_only
        .address_space:  global
        .offset:         72
        .size:           8
        .value_kind:     global_buffer
      - .actual_access:  read_only
        .address_space:  global
        .offset:         80
        .size:           8
        .value_kind:     global_buffer
      - .actual_access:  read_only
        .address_space:  global
        .offset:         88
        .size:           8
        .value_kind:     global_buffer
      - .actual_access:  write_only
        .address_space:  global
        .offset:         96
        .size:           8
        .value_kind:     global_buffer
    .group_segment_fixed_size: 0
    .kernarg_segment_align: 8
    .kernarg_segment_size: 104
    .language:       OpenCL C
    .language_version:
      - 2
      - 0
    .max_flat_workgroup_size: 234
    .name:           fft_rtc_back_len936_factors_2_2_13_2_3_3_wgs_234_tpt_78_halfLds_dp_op_CI_CI_sbrr_dirReg
    .private_segment_fixed_size: 0
    .sgpr_count:     52
    .sgpr_spill_count: 0
    .symbol:         fft_rtc_back_len936_factors_2_2_13_2_3_3_wgs_234_tpt_78_halfLds_dp_op_CI_CI_sbrr_dirReg.kd
    .uniform_work_group_size: 1
    .uses_dynamic_stack: false
    .vgpr_count:     153
    .vgpr_spill_count: 0
    .wavefront_size: 64
amdhsa.target:   amdgcn-amd-amdhsa--gfx906
amdhsa.version:
  - 1
  - 2
...

	.end_amdgpu_metadata
